;; amdgpu-corpus repo=ROCm/rocFFT kind=compiled arch=gfx1201 opt=O3
	.text
	.amdgcn_target "amdgcn-amd-amdhsa--gfx1201"
	.amdhsa_code_object_version 6
	.protected	bluestein_single_back_len1350_dim1_sp_op_CI_CI ; -- Begin function bluestein_single_back_len1350_dim1_sp_op_CI_CI
	.globl	bluestein_single_back_len1350_dim1_sp_op_CI_CI
	.p2align	8
	.type	bluestein_single_back_len1350_dim1_sp_op_CI_CI,@function
bluestein_single_back_len1350_dim1_sp_op_CI_CI: ; @bluestein_single_back_len1350_dim1_sp_op_CI_CI
; %bb.0:
	s_load_b128 s[16:19], s[0:1], 0x28
	v_mul_u32_u24_e32 v1, 0x1e6, v0
	s_mov_b32 s2, exec_lo
	v_mov_b32_e32 v81, 0
	s_delay_alu instid0(VALU_DEP_2) | instskip(NEXT) | instid1(VALU_DEP_1)
	v_lshrrev_b32_e32 v1, 16, v1
	v_add_nc_u32_e32 v80, ttmp9, v1
	s_wait_kmcnt 0x0
	s_delay_alu instid0(VALU_DEP_1)
	v_cmpx_gt_u64_e64 s[16:17], v[80:81]
	s_cbranch_execz .LBB0_26
; %bb.1:
	s_clause 0x1
	s_load_b128 s[4:7], s[0:1], 0x18
	s_load_b128 s[8:11], s[0:1], 0x0
	v_mul_lo_u16 v1, 0x87, v1
	s_delay_alu instid0(VALU_DEP_1) | instskip(NEXT) | instid1(VALU_DEP_1)
	v_sub_nc_u16 v16, v0, v1
	v_and_b32_e32 v117, 0xffff, v16
	v_mul_lo_u16 v27, v16, 5
	s_delay_alu instid0(VALU_DEP_2)
	v_lshlrev_b32_e32 v118, 3, v117
	s_wait_kmcnt 0x0
	s_load_b128 s[12:15], s[4:5], 0x0
	s_clause 0x2
	global_load_b64 v[83:84], v118, s[8:9]
	global_load_b64 v[81:82], v118, s[8:9] offset:4320
	global_load_b64 v[91:92], v118, s[8:9] offset:8640
	s_wait_kmcnt 0x0
	v_mad_co_u64_u32 v[0:1], null, s14, v80, 0
	v_mad_co_u64_u32 v[2:3], null, s12, v117, 0
	s_mul_u64 s[2:3], s[12:13], 0x870
	s_mul_i32 s4, s13, 0xffffe278
	s_delay_alu instid0(SALU_CYCLE_1) | instskip(NEXT) | instid1(VALU_DEP_1)
	s_sub_co_i32 s4, s4, s12
	v_mad_co_u64_u32 v[4:5], null, s15, v80, v[1:2]
	s_delay_alu instid0(VALU_DEP_1) | instskip(SKIP_1) | instid1(VALU_DEP_1)
	v_mad_co_u64_u32 v[5:6], null, s13, v117, v[3:4]
	v_mov_b32_e32 v1, v4
	v_lshlrev_b64_e32 v[0:1], 3, v[0:1]
	s_delay_alu instid0(VALU_DEP_3) | instskip(NEXT) | instid1(VALU_DEP_2)
	v_mov_b32_e32 v3, v5
	v_add_co_u32 v0, vcc_lo, s18, v0
	s_delay_alu instid0(VALU_DEP_2) | instskip(NEXT) | instid1(VALU_DEP_4)
	v_lshlrev_b64_e32 v[2:3], 3, v[2:3]
	v_add_co_ci_u32_e32 v1, vcc_lo, s19, v1, vcc_lo
	s_delay_alu instid0(VALU_DEP_2) | instskip(SKIP_1) | instid1(VALU_DEP_2)
	v_add_co_u32 v0, vcc_lo, v0, v2
	s_wait_alu 0xfffd
	v_add_co_ci_u32_e32 v1, vcc_lo, v1, v3, vcc_lo
	s_delay_alu instid0(VALU_DEP_2) | instskip(SKIP_1) | instid1(VALU_DEP_2)
	v_add_co_u32 v2, vcc_lo, v0, s2
	s_wait_alu 0xfffd
	v_add_co_ci_u32_e32 v3, vcc_lo, s3, v1, vcc_lo
	global_load_b64 v[0:1], v[0:1], off
	v_add_co_u32 v4, vcc_lo, v2, s2
	s_wait_alu 0xfffd
	v_add_co_ci_u32_e32 v5, vcc_lo, s3, v3, vcc_lo
	s_clause 0x1
	global_load_b64 v[85:86], v118, s[8:9] offset:3240
	global_load_b64 v[97:98], v118, s[8:9] offset:2160
	global_load_b64 v[2:3], v[2:3], off
	v_add_co_u32 v6, vcc_lo, v4, s2
	s_wait_alu 0xfffd
	v_add_co_ci_u32_e32 v7, vcc_lo, s3, v5, vcc_lo
	global_load_b64 v[4:5], v[4:5], off
	global_load_b64 v[99:100], v118, s[8:9] offset:1080
	v_add_co_u32 v8, vcc_lo, v6, s2
	s_wait_alu 0xfffd
	v_add_co_ci_u32_e32 v9, vcc_lo, s3, v7, vcc_lo
	s_clause 0x1
	global_load_b64 v[95:96], v118, s[8:9] offset:6480
	global_load_b64 v[87:88], v118, s[8:9] offset:5400
	global_load_b64 v[6:7], v[6:7], off
	v_mad_co_u64_u32 v[10:11], null, 0xffffe278, s12, v[8:9]
	global_load_b64 v[8:9], v[8:9], off
	v_add_nc_u32_e32 v31, 0x1800, v118
	v_add_nc_u32_e32 v35, 0x2000, v118
	;; [unrolled: 1-line block ×3, first 2 shown]
	v_add_co_u32 v12, vcc_lo, v10, s2
	s_wait_loadcnt 0x9
	v_mul_f32_e32 v24, v0, v84
	s_wait_alu 0xfffd
	v_add_co_ci_u32_e32 v13, vcc_lo, s3, v11, vcc_lo
	global_load_b64 v[10:11], v[10:11], off
	v_add_co_u32 v14, vcc_lo, v12, s2
	s_wait_alu 0xfffd
	v_add_co_ci_u32_e32 v15, vcc_lo, s3, v13, vcc_lo
	global_load_b64 v[12:13], v[12:13], off
	v_add_co_u32 v17, vcc_lo, v14, s2
	;; [unrolled: 4-line block ×3, first 2 shown]
	s_wait_alu 0xfffd
	v_add_co_ci_u32_e32 v20, vcc_lo, s3, v18, vcc_lo
	global_load_b64 v[89:90], v118, s[8:9] offset:7560
	global_load_b64 v[21:22], v[17:18], off
	global_load_b64 v[93:94], v118, s[8:9] offset:9720
	global_load_b64 v[19:20], v[19:20], off
	s_wait_loadcnt 0x7
	v_dual_mul_f32 v25, v3, v98 :: v_dual_mul_f32 v30, v8, v92
	v_dual_mul_f32 v26, v2, v98 :: v_dual_and_b32 v17, 0xff, v16
	v_fma_f32 v24, v1, v83, -v24
	s_delay_alu instid0(VALU_DEP_3) | instskip(SKIP_1) | instid1(VALU_DEP_4)
	v_dual_fmac_f32 v25, v2, v97 :: v_dual_mul_f32 v2, v7, v96
	v_mul_f32_e32 v23, v1, v84
	v_fma_f32 v26, v3, v97, -v26
	v_mul_f32_e32 v3, v6, v96
	s_load_b128 s[4:7], s[6:7], 0x0
	v_fmac_f32_e32 v2, v6, v95
	v_dual_fmac_f32 v23, v0, v83 :: v_dual_mul_f32 v0, v5, v82
	v_mul_lo_u16 v17, 0xcd, v17
	v_fma_f32 v3, v7, v95, -v3
	v_add_nc_u32_e32 v18, 0x800, v118
	v_add_co_u32 v129, s2, 0x87, v117
	s_delay_alu instid0(VALU_DEP_4) | instskip(SKIP_3) | instid1(VALU_DEP_3)
	v_lshrrev_b16 v28, 10, v17
	v_dual_fmac_f32 v0, v4, v81 :: v_dual_add_nc_u32 v17, 0x1000, v118
	s_wait_alu 0xf1ff
	v_add_co_ci_u32_e64 v70, null, 0, 0, s2
	v_mul_lo_u16 v29, v28, 5
	s_load_b64 s[2:3], s[0:1], 0x38
	v_cmp_gt_u16_e32 vcc_lo, 45, v16
	s_wait_loadcnt 0x6
	v_dual_mul_f32 v6, v11, v100 :: v_dual_mul_f32 v1, v4, v82
	v_mul_f32_e32 v4, v9, v92
	s_delay_alu instid0(VALU_DEP_2) | instskip(NEXT) | instid1(VALU_DEP_3)
	v_fmac_f32_e32 v6, v10, v99
	v_fma_f32 v1, v5, v81, -v1
	s_delay_alu instid0(VALU_DEP_3)
	v_fmac_f32_e32 v4, v8, v91
	v_fma_f32 v5, v9, v91, -v30
	ds_store_b64 v118, v[25:26] offset:2160
	ds_store_b64 v118, v[0:1] offset:4320
	;; [unrolled: 1-line block ×4, first 2 shown]
	s_wait_loadcnt 0x5
	v_dual_mul_f32 v0, v13, v86 :: v_dual_mul_f32 v1, v10, v100
	s_wait_loadcnt 0x4
	v_dual_mul_f32 v3, v12, v86 :: v_dual_mul_f32 v2, v15, v88
	s_wait_loadcnt 0x2
	v_mul_f32_e32 v4, v22, v90
	v_fmac_f32_e32 v0, v12, v85
	v_fma_f32 v7, v11, v99, -v1
	v_fma_f32 v1, v13, v85, -v3
	s_wait_loadcnt 0x0
	v_dual_mul_f32 v3, v14, v88 :: v_dual_mul_f32 v8, v20, v94
	v_dual_fmac_f32 v2, v14, v87 :: v_dual_mul_f32 v5, v21, v90
	v_dual_mul_f32 v9, v19, v94 :: v_dual_fmac_f32 v4, v21, v89
	s_delay_alu instid0(VALU_DEP_3) | instskip(NEXT) | instid1(VALU_DEP_4)
	v_fma_f32 v3, v15, v87, -v3
	v_fmac_f32_e32 v8, v19, v93
	s_delay_alu instid0(VALU_DEP_4) | instskip(NEXT) | instid1(VALU_DEP_4)
	v_fma_f32 v5, v22, v89, -v5
	v_fma_f32 v9, v20, v93, -v9
	ds_store_2addr_b64 v118, v[23:24], v[6:7] offset1:135
	ds_store_b64 v118, v[0:1] offset:3240
	ds_store_b64 v118, v[2:3] offset:5400
	;; [unrolled: 1-line block ×4, first 2 shown]
	global_wb scope:SCOPE_SE
	s_wait_dscnt 0x0
	s_wait_kmcnt 0x0
	s_barrier_signal -1
	s_barrier_wait -1
	global_inv scope:SCOPE_SE
	ds_load_2addr_b64 v[0:3], v118 offset1:135
	ds_load_2addr_b64 v[4:7], v18 offset0:14 offset1:149
	ds_load_2addr_b64 v[8:11], v17 offset0:28 offset1:163
	;; [unrolled: 1-line block ×4, first 2 shown]
	v_mul_u32_u24_e32 v25, 5, v129
	v_and_b32_e32 v24, 0xffff, v27
	v_sub_nc_u16 v23, v16, v29
	global_wb scope:SCOPE_SE
	s_wait_dscnt 0x0
	s_barrier_signal -1
	v_lshlrev_b32_e32 v120, 3, v25
	s_barrier_wait -1
	v_and_b32_e32 v39, 0xff, v23
	global_inv scope:SCOPE_SE
	v_add_f32_e32 v25, v0, v4
	v_dual_sub_f32 v30, v4, v8 :: v_dual_add_f32 v37, v1, v5
	v_dual_add_f32 v26, v8, v12 :: v_dual_sub_f32 v29, v9, v13
	v_dual_sub_f32 v32, v19, v12 :: v_dual_add_f32 v33, v4, v19
	v_dual_add_f32 v38, v9, v13 :: v_dual_sub_f32 v41, v8, v12
	v_dual_sub_f32 v43, v20, v13 :: v_dual_add_f32 v44, v5, v20
	v_dual_sub_f32 v36, v12, v19 :: v_dual_add_f32 v47, v2, v6
	;; [unrolled: 1-line block ×3, first 2 shown]
	v_dual_add_f32 v48, v10, v14 :: v_dual_add_f32 v57, v11, v15
	v_dual_add_f32 v56, v3, v7 :: v_dual_sub_f32 v59, v10, v14
	v_dual_add_f32 v62, v7, v22 :: v_dual_sub_f32 v27, v5, v20
	v_dual_sub_f32 v34, v8, v4 :: v_dual_sub_f32 v45, v9, v5
	v_dual_sub_f32 v40, v4, v19 :: v_dual_sub_f32 v49, v7, v22
	;; [unrolled: 1-line block ×3, first 2 shown]
	v_fma_f32 v4, -0.5, v26, v0
	v_fma_f32 v0, -0.5, v33, v0
	v_add_f32_e32 v9, v37, v9
	v_add_f32_e32 v8, v25, v8
	v_fma_f32 v5, -0.5, v38, v1
	v_dual_sub_f32 v50, v11, v15 :: v_dual_sub_f32 v55, v14, v21
	v_dual_sub_f32 v52, v21, v14 :: v_dual_sub_f32 v61, v22, v15
	;; [unrolled: 1-line block ×3, first 2 shown]
	v_fma_f32 v1, -0.5, v44, v1
	v_dual_sub_f32 v58, v6, v21 :: v_dual_add_f32 v33, v47, v10
	v_dual_sub_f32 v60, v7, v11 :: v_dual_add_f32 v25, v30, v32
	v_fma_f32 v6, -0.5, v48, v2
	v_fma_f32 v2, -0.5, v53, v2
	;; [unrolled: 1-line block ×3, first 2 shown]
	v_dual_sub_f32 v64, v15, v22 :: v_dual_add_f32 v37, v56, v11
	v_dual_fmac_f32 v3, -0.5, v62 :: v_dual_add_f32 v26, v34, v36
	v_dual_add_f32 v30, v42, v43 :: v_dual_add_f32 v43, v8, v12
	v_fmamk_f32 v8, v27, 0x3f737871, v4
	v_fmamk_f32 v10, v29, 0xbf737871, v0
	v_fmac_f32_e32 v0, 0x3f737871, v29
	s_delay_alu instid0(VALU_DEP_4)
	v_dual_add_f32 v44, v9, v13 :: v_dual_add_f32 v19, v43, v19
	v_dual_fmamk_f32 v9, v40, 0xbf737871, v5 :: v_dual_add_f32 v34, v51, v52
	v_dual_fmamk_f32 v11, v41, 0x3f737871, v1 :: v_dual_add_f32 v36, v54, v55
	v_dual_fmac_f32 v1, 0xbf737871, v41 :: v_dual_fmac_f32 v4, 0xbf737871, v27
	v_dual_fmamk_f32 v13, v58, 0xbf737871, v7 :: v_dual_add_f32 v32, v45, v46
	v_dual_fmac_f32 v5, 0x3f737871, v40 :: v_dual_add_f32 v38, v60, v61
	v_add_f32_e32 v33, v33, v14
	v_fmamk_f32 v12, v49, 0x3f737871, v6
	v_fmamk_f32 v14, v50, 0xbf737871, v2
	v_dual_add_f32 v42, v63, v64 :: v_dual_add_f32 v37, v37, v15
	v_fmac_f32_e32 v6, 0xbf737871, v49
	v_fmac_f32_e32 v2, 0x3f737871, v50
	;; [unrolled: 1-line block ×3, first 2 shown]
	v_fmamk_f32 v15, v59, 0x3f737871, v3
	v_fmac_f32_e32 v3, 0xbf737871, v59
	v_dual_fmac_f32 v8, 0x3f167918, v29 :: v_dual_fmac_f32 v1, 0x3f167918, v40
	v_dual_fmac_f32 v0, 0xbf167918, v27 :: v_dual_fmac_f32 v9, 0xbf167918, v41
	;; [unrolled: 1-line block ×4, first 2 shown]
	v_lshlrev_b32_e32 v121, 3, v24
	v_mad_co_u64_u32 v[23:24], null, 0x48, v39, s[10:11]
	v_dual_add_f32 v20, v44, v20 :: v_dual_fmac_f32 v13, 0xbf167918, v59
	v_dual_add_f32 v21, v33, v21 :: v_dual_fmac_f32 v12, 0x3f167918, v50
	v_dual_fmac_f32 v7, 0x3f167918, v59 :: v_dual_fmac_f32 v14, 0x3f167918, v49
	v_fmac_f32_e32 v3, 0x3f167918, v58
	v_fmac_f32_e32 v6, 0xbf167918, v50
	v_dual_fmac_f32 v2, 0xbf167918, v49 :: v_dual_fmac_f32 v15, 0xbf167918, v58
	v_dual_fmac_f32 v8, 0x3e9e377a, v25 :: v_dual_fmac_f32 v9, 0x3e9e377a, v30
	v_dual_add_f32 v22, v37, v22 :: v_dual_fmac_f32 v11, 0x3e9e377a, v32
	v_dual_fmac_f32 v10, 0x3e9e377a, v26 :: v_dual_fmac_f32 v1, 0x3e9e377a, v32
	v_fmac_f32_e32 v0, 0x3e9e377a, v26
	v_dual_fmac_f32 v4, 0x3e9e377a, v25 :: v_dual_fmac_f32 v5, 0x3e9e377a, v30
	v_fmac_f32_e32 v12, 0x3e9e377a, v34
	;; [unrolled: 2-line block ×4, first 2 shown]
	v_fmac_f32_e32 v3, 0x3e9e377a, v42
	ds_store_2addr_b64 v121, v[19:20], v[8:9] offset1:1
	ds_store_2addr_b64 v121, v[10:11], v[0:1] offset0:2 offset1:3
	ds_store_b64 v121, v[4:5] offset:32
	ds_store_2addr_b64 v120, v[21:22], v[12:13] offset1:1
	ds_store_2addr_b64 v120, v[14:15], v[2:3] offset0:2 offset1:3
	ds_store_b64 v120, v[6:7] offset:32
	global_wb scope:SCOPE_SE
	s_wait_dscnt 0x0
	s_barrier_signal -1
	s_barrier_wait -1
	global_inv scope:SCOPE_SE
	s_clause 0x4
	global_load_b128 v[12:15], v[23:24], off
	global_load_b128 v[8:11], v[23:24], off offset:16
	global_load_b128 v[4:7], v[23:24], off offset:32
	;; [unrolled: 1-line block ×3, first 2 shown]
	global_load_b64 v[101:102], v[23:24], off offset:64
	ds_load_2addr_b64 v[19:22], v118 offset1:135
	ds_load_2addr_b64 v[23:26], v18 offset0:14 offset1:149
	ds_load_2addr_b64 v[35:38], v35 offset0:56 offset1:191
	v_and_b32_e32 v32, 0xffff, v28
	ds_load_2addr_b64 v[27:30], v17 offset0:28 offset1:163
	s_wait_loadcnt_dscnt 0x402
	v_dual_mul_f32 v42, v24, v15 :: v_dual_add_nc_u32 v41, 0x1c00, v118
	s_wait_loadcnt 0x3
	v_dual_mul_f32 v44, v26, v9 :: v_dual_mul_f32 v43, v23, v15
	s_wait_loadcnt_dscnt 0x101
	v_mul_f32_e32 v55, v35, v3
	v_mul_u32_u24_e32 v40, 50, v32
	ds_load_2addr_b64 v[31:34], v31 offset0:42 offset1:177
	s_wait_dscnt 0x1
	v_dual_mul_f32 v45, v25, v9 :: v_dual_mul_f32 v46, v28, v11
	s_wait_loadcnt 0x0
	v_mul_f32_e32 v57, v37, v102
	v_add_lshl_u32 v119, v40, v39, 3
	v_mul_f32_e32 v39, v22, v13
	v_dual_mul_f32 v40, v21, v13 :: v_dual_mul_f32 v47, v27, v11
	v_dual_mul_f32 v48, v30, v5 :: v_dual_fmac_f32 v43, v24, v14
	v_dual_mul_f32 v49, v29, v5 :: v_dual_mul_f32 v54, v36, v3
	s_delay_alu instid0(VALU_DEP_4)
	v_fma_f32 v39, v21, v12, -v39
	v_fma_f32 v21, v23, v14, -v42
	v_mul_f32_e32 v56, v38, v102
	v_fmac_f32_e32 v45, v26, v8
	v_fma_f32 v23, v27, v10, -v46
	v_fmac_f32_e32 v47, v28, v10
	v_fma_f32 v24, v29, v4, -v48
	s_wait_dscnt 0x0
	v_dual_add_f32 v29, v19, v21 :: v_dual_mul_f32 v50, v32, v7
	v_dual_mul_f32 v51, v31, v7 :: v_dual_mul_f32 v52, v34, v1
	v_dual_mul_f32 v53, v33, v1 :: v_dual_fmac_f32 v40, v22, v12
	v_fma_f32 v22, v25, v8, -v44
	s_delay_alu instid0(VALU_DEP_3)
	v_fmac_f32_e32 v51, v32, v6
	v_fmac_f32_e32 v49, v30, v4
	v_fma_f32 v25, v31, v6, -v50
	v_fma_f32 v26, v33, v0, -v52
	v_fmac_f32_e32 v53, v34, v0
	v_fma_f32 v27, v35, v2, -v54
	v_dual_fmac_f32 v55, v36, v2 :: v_dual_sub_f32 v32, v47, v51
	v_fma_f32 v28, v37, v101, -v56
	v_dual_fmac_f32 v57, v38, v101 :: v_dual_add_f32 v38, v20, v43
	v_add_f32_e32 v30, v23, v25
	s_delay_alu instid0(VALU_DEP_4)
	v_dual_sub_f32 v31, v43, v55 :: v_dual_add_f32 v56, v24, v26
	v_dual_sub_f32 v33, v21, v23 :: v_dual_sub_f32 v34, v27, v25
	v_dual_add_f32 v35, v21, v27 :: v_dual_sub_f32 v36, v23, v21
	v_dual_sub_f32 v37, v25, v27 :: v_dual_sub_f32 v44, v23, v25
	v_dual_add_f32 v42, v47, v51 :: v_dual_sub_f32 v59, v49, v53
	v_dual_sub_f32 v21, v21, v27 :: v_dual_add_f32 v54, v39, v22
	v_dual_sub_f32 v46, v43, v47 :: v_dual_sub_f32 v61, v28, v26
	v_dual_add_f32 v50, v43, v55 :: v_dual_add_f32 v65, v40, v45
	v_dual_sub_f32 v43, v47, v43 :: v_dual_sub_f32 v58, v45, v57
	v_dual_sub_f32 v52, v51, v55 :: v_dual_sub_f32 v67, v24, v26
	v_dual_add_f32 v62, v22, v28 :: v_dual_add_f32 v71, v45, v57
	v_add_f32_e32 v66, v49, v53
	v_dual_sub_f32 v48, v55, v51 :: v_dual_sub_f32 v63, v24, v22
	v_dual_sub_f32 v60, v22, v24 :: v_dual_sub_f32 v69, v57, v53
	v_sub_f32_e32 v22, v22, v28
	v_sub_f32_e32 v68, v45, v49
	v_fma_f32 v73, -0.5, v30, v19
	v_fma_f32 v35, -0.5, v35, v19
	;; [unrolled: 1-line block ×4, first 2 shown]
	v_add_f32_e32 v19, v29, v23
	v_dual_add_f32 v20, v33, v34 :: v_dual_add_f32 v23, v36, v37
	v_add_f32_e32 v29, v38, v47
	v_add_f32_e32 v33, v43, v52
	v_dual_add_f32 v24, v54, v24 :: v_dual_fmamk_f32 v47, v31, 0x3f737871, v73
	v_fma_f32 v36, -0.5, v56, v39
	v_dual_add_f32 v38, v65, v49 :: v_dual_fmac_f32 v73, 0xbf737871, v31
	v_fma_f32 v43, -0.5, v66, v40
	v_fmac_f32_e32 v40, -0.5, v71
	v_dual_sub_f32 v64, v26, v28 :: v_dual_sub_f32 v45, v49, v45
	v_dual_sub_f32 v72, v53, v57 :: v_dual_fmac_f32 v39, -0.5, v62
	v_dual_add_f32 v30, v46, v48 :: v_dual_add_f32 v19, v19, v25
	v_dual_fmamk_f32 v48, v32, 0xbf737871, v35 :: v_dual_add_f32 v25, v29, v51
	v_fmac_f32_e32 v35, 0x3f737871, v32
	v_dual_fmamk_f32 v49, v21, 0xbf737871, v42 :: v_dual_add_f32 v24, v24, v26
	v_dual_fmamk_f32 v51, v44, 0x3f737871, v50 :: v_dual_add_f32 v38, v38, v53
	v_dual_fmac_f32 v50, 0xbf737871, v44 :: v_dual_fmamk_f32 v29, v59, 0xbf737871, v39
	v_fmamk_f32 v26, v58, 0x3f737871, v36
	v_fmamk_f32 v53, v67, 0x3f737871, v40
	v_fmac_f32_e32 v40, 0xbf737871, v67
	v_dual_add_f32 v34, v60, v61 :: v_dual_add_f32 v37, v63, v64
	v_dual_add_f32 v46, v68, v69 :: v_dual_add_f32 v45, v45, v72
	v_dual_fmac_f32 v42, 0x3f737871, v21 :: v_dual_fmac_f32 v39, 0x3f737871, v59
	v_dual_fmac_f32 v36, 0xbf737871, v58 :: v_dual_add_f32 v27, v19, v27
	v_dual_fmamk_f32 v52, v22, 0xbf737871, v43 :: v_dual_add_f32 v25, v25, v55
	v_fmac_f32_e32 v43, 0x3f737871, v22
	v_dual_fmac_f32 v47, 0x3f167918, v32 :: v_dual_fmac_f32 v48, 0x3f167918, v31
	s_delay_alu instid0(VALU_DEP_4) | instskip(NEXT) | instid1(VALU_DEP_4)
	v_dual_fmac_f32 v73, 0xbf167918, v32 :: v_dual_fmac_f32 v36, 0xbf167918, v59
	v_dual_fmac_f32 v49, 0xbf167918, v44 :: v_dual_fmac_f32 v52, 0xbf167918, v67
	v_fmac_f32_e32 v51, 0xbf167918, v21
	v_dual_fmac_f32 v50, 0x3f167918, v21 :: v_dual_fmac_f32 v43, 0x3f167918, v67
	v_dual_add_f32 v21, v24, v28 :: v_dual_fmac_f32 v26, 0x3f167918, v59
	v_dual_add_f32 v24, v38, v57 :: v_dual_fmac_f32 v35, 0xbf167918, v31
	v_fmac_f32_e32 v40, 0x3f167918, v22
	v_dual_fmac_f32 v42, 0x3f167918, v44 :: v_dual_fmac_f32 v29, 0x3f167918, v58
	v_dual_fmac_f32 v47, 0x3e9e377a, v20 :: v_dual_fmac_f32 v48, 0x3e9e377a, v23
	s_delay_alu instid0(VALU_DEP_2)
	v_dual_fmac_f32 v73, 0x3e9e377a, v20 :: v_dual_fmac_f32 v42, 0x3e9e377a, v30
	v_fmac_f32_e32 v50, 0x3e9e377a, v33
	v_fmac_f32_e32 v53, 0xbf167918, v22
	v_dual_add_f32 v19, v27, v21 :: v_dual_fmac_f32 v26, 0x3e9e377a, v34
	v_dual_add_f32 v20, v25, v24 :: v_dual_fmac_f32 v35, 0x3e9e377a, v23
	v_sub_f32_e32 v21, v27, v21
	v_dual_fmac_f32 v49, 0x3e9e377a, v30 :: v_dual_fmac_f32 v40, 0x3e9e377a, v45
	v_dual_sub_f32 v22, v25, v24 :: v_dual_fmac_f32 v51, 0x3e9e377a, v33
	v_fmac_f32_e32 v39, 0xbf167918, v58
	v_dual_fmac_f32 v36, 0x3e9e377a, v34 :: v_dual_fmac_f32 v29, 0x3e9e377a, v37
	s_delay_alu instid0(VALU_DEP_4) | instskip(NEXT) | instid1(VALU_DEP_3)
	v_dual_mul_f32 v25, 0x3e9e377a, v40 :: v_dual_fmac_f32 v52, 0x3e9e377a, v46
	v_fmac_f32_e32 v39, 0x3e9e377a, v37
	v_mul_f32_e32 v34, 0xbf167918, v26
	global_wb scope:SCOPE_SE
	s_barrier_signal -1
	s_barrier_wait -1
	v_mul_f32_e32 v23, 0x3e9e377a, v39
	v_fma_f32 v39, 0xbf737871, v39, -v25
	global_inv scope:SCOPE_SE
	v_fma_f32 v38, 0x3f737871, v40, -v23
	v_fmac_f32_e32 v34, 0x3f4f1bbd, v52
	v_dual_add_f32 v28, v50, v39 :: v_dual_fmac_f32 v53, 0x3e9e377a, v45
	s_delay_alu instid0(VALU_DEP_1) | instskip(NEXT) | instid1(VALU_DEP_1)
	v_mul_f32_e32 v32, 0x3f737871, v53
	v_dual_fmac_f32 v43, 0x3e9e377a, v46 :: v_dual_fmac_f32 v32, 0x3e9e377a, v29
	s_delay_alu instid0(VALU_DEP_1) | instskip(NEXT) | instid1(VALU_DEP_2)
	v_dual_mul_f32 v24, 0x3f4f1bbd, v36 :: v_dual_mul_f32 v27, 0x3f4f1bbd, v43
	v_add_f32_e32 v25, v48, v32
	s_delay_alu instid0(VALU_DEP_2) | instskip(NEXT) | instid1(VALU_DEP_3)
	v_fma_f32 v40, 0x3f167918, v43, -v24
	v_fma_f32 v43, 0xbf167918, v36, -v27
	v_mul_f32_e32 v31, 0x3f167918, v52
	v_add_f32_e32 v27, v35, v38
	v_dual_mul_f32 v37, 0xbf737871, v29 :: v_dual_add_f32 v24, v49, v34
	s_delay_alu instid0(VALU_DEP_3) | instskip(SKIP_1) | instid1(VALU_DEP_3)
	v_dual_add_f32 v30, v42, v43 :: v_dual_fmac_f32 v31, 0x3f4f1bbd, v26
	v_dual_sub_f32 v36, v50, v39 :: v_dual_sub_f32 v33, v48, v32
	v_dual_sub_f32 v32, v49, v34 :: v_dual_fmac_f32 v37, 0x3e9e377a, v53
	s_delay_alu instid0(VALU_DEP_3)
	v_add_f32_e32 v23, v47, v31
	v_add_f32_e32 v29, v73, v40
	v_sub_f32_e32 v31, v47, v31
	v_sub_f32_e32 v35, v35, v38
	v_add_f32_e32 v26, v51, v37
	v_sub_f32_e32 v34, v51, v37
	v_dual_sub_f32 v64, v73, v40 :: v_dual_sub_f32 v65, v42, v43
	ds_store_2addr_b64 v119, v[19:20], v[23:24] offset1:5
	ds_store_2addr_b64 v119, v[25:26], v[27:28] offset0:10 offset1:15
	ds_store_2addr_b64 v119, v[29:30], v[21:22] offset0:20 offset1:25
	;; [unrolled: 1-line block ×4, first 2 shown]
	global_wb scope:SCOPE_SE
	s_wait_dscnt 0x0
	s_barrier_signal -1
	s_barrier_wait -1
	global_inv scope:SCOPE_SE
	ds_load_2addr_b64 v[36:39], v118 offset1:135
	ds_load_2addr_b64 v[32:35], v18 offset0:14 offset1:194
	ds_load_2addr_b64 v[44:47], v41 offset0:4 offset1:139
	;; [unrolled: 1-line block ×3, first 2 shown]
	ds_load_b64 v[48:49], v118 offset:9360
                                        ; implicit-def: $vgpr50
                                        ; implicit-def: $vgpr52
	s_and_saveexec_b32 s0, vcc_lo
	s_cbranch_execz .LBB0_3
; %bb.2:
	ds_load_b64 v[64:65], v118 offset:3240
	ds_load_b64 v[50:51], v118 offset:6840
	;; [unrolled: 1-line block ×3, first 2 shown]
.LBB0_3:
	s_wait_alu 0xfffe
	s_or_b32 exec_lo, exec_lo, s0
	v_and_b32_e32 v16, 0xff, v117
	v_lshrrev_b16 v17, 1, v129
	v_add_co_u32 v103, s0, 0x10e, v117
	s_wait_alu 0xf1ff
	v_add_co_ci_u32_e64 v104, null, 0, 0, s0
	v_mul_lo_u16 v16, v16, 41
	v_and_b32_e32 v17, 0xffff, v17
	v_add_co_u32 v130, s0, 0x195, v117
	s_wait_alu 0xf1ff
	v_add_co_ci_u32_e64 v131, null, 0, 0, s0
	v_lshrrev_b16 v54, 11, v16
	v_mul_u32_u24_e32 v17, 0x147b, v17
	v_lshrrev_b16 v19, 1, v130
	v_lshrrev_b16 v18, 1, v103
	s_delay_alu instid0(VALU_DEP_4) | instskip(NEXT) | instid1(VALU_DEP_4)
	v_mul_lo_u16 v16, v54, 50
	v_lshrrev_b32_e32 v55, 17, v17
	s_delay_alu instid0(VALU_DEP_4) | instskip(SKIP_1) | instid1(VALU_DEP_4)
	v_and_b32_e32 v71, 0xffff, v19
	v_and_b32_e32 v54, 0xffff, v54
	v_sub_nc_u16 v16, v117, v16
	s_delay_alu instid0(VALU_DEP_4) | instskip(NEXT) | instid1(VALU_DEP_4)
	v_mul_lo_u16 v17, v55, 50
	v_mul_u32_u24_e32 v19, 0x147b, v71
	s_delay_alu instid0(VALU_DEP_4) | instskip(NEXT) | instid1(VALU_DEP_4)
	v_mul_u32_u24_e32 v54, 0x96, v54
	v_and_b32_e32 v58, 0xff, v16
	s_delay_alu instid0(VALU_DEP_4) | instskip(NEXT) | instid1(VALU_DEP_4)
	v_sub_nc_u16 v56, v129, v17
	v_lshrrev_b32_e32 v17, 17, v19
	s_delay_alu instid0(VALU_DEP_3) | instskip(NEXT) | instid1(VALU_DEP_3)
	v_lshlrev_b32_e32 v19, 4, v58
	v_lshlrev_b16 v16, 4, v56
	s_delay_alu instid0(VALU_DEP_3)
	v_mul_lo_u16 v17, v17, 50
	v_mad_u16 v55, 0x96, v55, v56
	global_load_b128 v[28:31], v19, s[10:11] offset:360
	v_and_b32_e32 v16, 0xffff, v16
	v_sub_nc_u16 v60, v130, v17
	v_and_b32_e32 v55, 0xffff, v55
	s_delay_alu instid0(VALU_DEP_3) | instskip(SKIP_2) | instid1(VALU_DEP_3)
	v_add_co_u32 v16, s0, s10, v16
	s_wait_alu 0xf1ff
	v_add_co_ci_u32_e64 v17, null, s11, 0, s0
	v_lshlrev_b32_e32 v125, 3, v55
	v_and_b32_e32 v122, 0xffff, v60
	global_load_b128 v[24:27], v[16:17], off offset:360
	v_and_b32_e32 v72, 0xffff, v18
	v_lshlrev_b16 v19, 4, v60
	s_wait_loadcnt_dscnt 0x103
	v_mul_f32_e32 v55, v34, v29
	s_delay_alu instid0(VALU_DEP_3) | instskip(NEXT) | instid1(VALU_DEP_2)
	v_mul_u32_u24_e32 v18, 0x147b, v72
	v_fmac_f32_e32 v55, v35, v28
	s_delay_alu instid0(VALU_DEP_2) | instskip(NEXT) | instid1(VALU_DEP_2)
	v_lshrrev_b32_e32 v57, 17, v18
	v_add_f32_e32 v61, v37, v55
	s_delay_alu instid0(VALU_DEP_2) | instskip(NEXT) | instid1(VALU_DEP_1)
	v_mul_lo_u16 v18, v57, 50
	v_sub_nc_u16 v59, v103, v18
	s_delay_alu instid0(VALU_DEP_1) | instskip(SKIP_2) | instid1(VALU_DEP_2)
	v_lshlrev_b16 v18, 4, v59
	v_mad_u16 v56, 0x96, v57, v59
	s_wait_dscnt 0x2
	v_dual_mul_f32 v57, v44, v31 :: v_dual_and_b32 v16, 0xffff, v18
	s_delay_alu instid0(VALU_DEP_1) | instskip(SKIP_2) | instid1(VALU_DEP_4)
	v_dual_fmac_f32 v57, v45, v30 :: v_dual_and_b32 v56, 0xffff, v56
	v_and_b32_e32 v18, 0xffff, v19
	v_add_lshl_u32 v124, v54, v58, 3
	v_add_co_u32 v16, s0, s10, v16
	s_wait_alu 0xf1ff
	v_add_co_ci_u32_e64 v17, null, s11, 0, s0
	v_sub_f32_e32 v60, v55, v57
	v_add_f32_e32 v55, v55, v57
	v_add_co_u32 v18, s0, s10, v18
	s_wait_alu 0xf1ff
	v_add_co_ci_u32_e64 v19, null, s11, 0, s0
	s_clause 0x1
	global_load_b128 v[20:23], v[16:17], off offset:360
	global_load_b128 v[16:19], v[18:19], off offset:360
	v_dual_mul_f32 v54, v35, v29 :: v_dual_lshlrev_b32 v123, 3, v56
	s_wait_loadcnt_dscnt 0x201
	v_dual_mul_f32 v56, v45, v31 :: v_dual_mul_f32 v45, v40, v25
	v_fma_f32 v37, -0.5, v55, v37
	global_wb scope:SCOPE_SE
	s_wait_loadcnt_dscnt 0x0
	v_fma_f32 v34, v34, v28, -v54
	v_mul_f32_e32 v54, v47, v27
	v_fma_f32 v35, v44, v30, -v56
	v_mul_f32_e32 v44, v41, v25
	v_dual_mul_f32 v56, v46, v27 :: v_dual_fmac_f32 v45, v41, v24
	s_delay_alu instid0(VALU_DEP_3) | instskip(SKIP_1) | instid1(VALU_DEP_4)
	v_dual_add_f32 v58, v36, v34 :: v_dual_add_f32 v59, v34, v35
	v_sub_f32_e32 v62, v34, v35
	v_fma_f32 v44, v40, v24, -v44
	v_fma_f32 v46, v46, v26, -v54
	v_fmac_f32_e32 v56, v47, v26
	v_fma_f32 v36, -0.5, v59, v36
	s_barrier_signal -1
	s_barrier_wait -1
	global_inv scope:SCOPE_SE
	v_dual_mul_f32 v41, v49, v23 :: v_dual_mul_f32 v40, v43, v21
	v_mul_f32_e32 v67, v53, v19
	v_dual_mul_f32 v47, v42, v21 :: v_dual_mul_f32 v54, v48, v23
	v_mul_f32_e32 v63, v51, v17
	v_mul_f32_e32 v66, v50, v17
	;; [unrolled: 1-line block ×3, first 2 shown]
	v_dual_add_f32 v34, v58, v35 :: v_dual_add_f32 v35, v61, v57
	v_fma_f32 v55, v42, v20, -v40
	v_fmac_f32_e32 v47, v43, v20
	v_fma_f32 v48, v48, v22, -v41
	v_fmac_f32_e32 v54, v49, v22
	v_fma_f32 v49, v50, v16, -v63
	v_dual_fmac_f32 v66, v51, v16 :: v_dual_add_f32 v43, v44, v46
	v_fma_f32 v50, v52, v18, -v67
	v_dual_fmamk_f32 v40, v60, 0x3f5db3d7, v36 :: v_dual_sub_f32 v51, v45, v56
	v_fmamk_f32 v41, v62, 0xbf5db3d7, v37
	v_add_f32_e32 v42, v38, v44
	v_dual_add_f32 v52, v39, v45 :: v_dual_add_f32 v45, v45, v56
	v_fmac_f32_e32 v68, v53, v18
	v_fmac_f32_e32 v36, 0xbf5db3d7, v60
	v_dual_sub_f32 v44, v44, v46 :: v_dual_add_f32 v53, v33, v47
	s_delay_alu instid0(VALU_DEP_4)
	v_dual_fmac_f32 v39, -0.5, v45 :: v_dual_add_f32 v42, v42, v46
	v_dual_add_f32 v46, v55, v48 :: v_dual_add_f32 v57, v49, v50
	v_add_f32_e32 v60, v66, v68
	v_fma_f32 v38, -0.5, v43, v38
	v_add_f32_e32 v43, v52, v56
	v_add_f32_e32 v45, v32, v55
	v_sub_f32_e32 v55, v55, v48
	v_sub_f32_e32 v52, v47, v54
	v_dual_add_f32 v47, v47, v54 :: v_dual_add_f32 v56, v64, v49
	v_dual_fmac_f32 v37, 0x3f5db3d7, v62 :: v_dual_sub_f32 v58, v66, v68
	v_add_f32_e32 v59, v65, v66
	v_sub_f32_e32 v49, v49, v50
	v_fma_f32 v32, -0.5, v46, v32
	v_dual_fmac_f32 v64, -0.5, v57 :: v_dual_fmac_f32 v65, -0.5, v60
	ds_store_2addr_b64 v124, v[34:35], v[40:41] offset1:50
	ds_store_b64 v124, v[36:37] offset:800
	v_dual_add_f32 v36, v45, v48 :: v_dual_fmac_f32 v33, -0.5, v47
	v_dual_fmamk_f32 v34, v51, 0x3f5db3d7, v38 :: v_dual_add_f32 v37, v53, v54
	v_dual_fmac_f32 v38, 0xbf5db3d7, v51 :: v_dual_add_f32 v105, v56, v50
	v_fmamk_f32 v35, v44, 0xbf5db3d7, v39
	v_fmac_f32_e32 v39, 0x3f5db3d7, v44
	v_add_f32_e32 v106, v59, v68
	v_fmamk_f32 v40, v52, 0x3f5db3d7, v32
	v_fmamk_f32 v66, v58, 0x3f5db3d7, v64
	v_dual_fmac_f32 v64, 0xbf5db3d7, v58 :: v_dual_fmamk_f32 v67, v49, 0xbf5db3d7, v65
	v_fmac_f32_e32 v65, 0x3f5db3d7, v49
	v_dual_fmac_f32 v32, 0xbf5db3d7, v52 :: v_dual_fmamk_f32 v41, v55, 0xbf5db3d7, v33
	v_fmac_f32_e32 v33, 0x3f5db3d7, v55
	ds_store_2addr_b64 v125, v[42:43], v[34:35] offset1:50
	ds_store_b64 v125, v[38:39] offset:800
	ds_store_2addr_b64 v123, v[36:37], v[40:41] offset1:50
	ds_store_b64 v123, v[32:33] offset:800
	s_and_saveexec_b32 s0, vcc_lo
	s_cbranch_execz .LBB0_5
; %bb.4:
	v_lshlrev_b32_e32 v32, 3, v122
	s_delay_alu instid0(VALU_DEP_1)
	v_add_nc_u32_e32 v33, 0x2000, v32
	ds_store_2addr_b64 v33, v[105:106], v[66:67] offset0:176 offset1:226
	ds_store_b64 v32, v[64:65] offset:10400
.LBB0_5:
	s_wait_alu 0xfffe
	s_or_b32 exec_lo, exec_lo, s0
	v_add_nc_u32_e32 v32, 0x800, v118
	v_add_nc_u32_e32 v36, 0x1c00, v118
	;; [unrolled: 1-line block ×3, first 2 shown]
	global_wb scope:SCOPE_SE
	s_wait_dscnt 0x0
	s_barrier_signal -1
	s_barrier_wait -1
	global_inv scope:SCOPE_SE
	ds_load_2addr_b64 v[52:55], v118 offset1:135
	ds_load_2addr_b64 v[32:35], v32 offset0:14 offset1:194
	ds_load_2addr_b64 v[60:63], v36 offset0:4 offset1:139
	;; [unrolled: 1-line block ×3, first 2 shown]
	ds_load_b64 v[68:69], v118 offset:9360
	s_and_saveexec_b32 s0, vcc_lo
	s_cbranch_execz .LBB0_7
; %bb.6:
	ds_load_b64 v[105:106], v118 offset:3240
	ds_load_b64 v[66:67], v118 offset:6840
	;; [unrolled: 1-line block ×3, first 2 shown]
.LBB0_7:
	s_wait_alu 0xfffe
	s_or_b32 exec_lo, exec_lo, s0
	v_add_co_u32 v40, s0, v117, -15
	s_wait_alu 0xf1ff
	v_add_co_ci_u32_e64 v41, null, 0, -1, s0
	v_cmp_gt_u16_e64 s0, 15, v117
	v_mul_u32_u24_e32 v42, 0xda75, v71
	v_lshlrev_b32_e32 v74, 4, v117
	s_wait_alu 0xf1ff
	s_delay_alu instid0(VALU_DEP_3)
	v_cndmask_b32_e64 v73, v41, v70, s0
	v_mul_u32_u24_e32 v41, 0xda75, v72
	v_cndmask_b32_e64 v72, v40, v129, s0
	v_lshrrev_b32_e32 v42, 22, v42
	global_load_b128 v[36:39], v74, s[10:11] offset:1160
	v_lshrrev_b32_e32 v70, 22, v41
	v_lshlrev_b64_e32 v[40:41], 4, v[72:73]
	v_mul_lo_u16 v42, 0x96, v42
	s_delay_alu instid0(VALU_DEP_3) | instskip(NEXT) | instid1(VALU_DEP_3)
	v_mul_lo_u16 v43, 0x96, v70
	v_add_co_u32 v40, s0, s10, v40
	s_wait_alu 0xf1ff
	s_delay_alu instid0(VALU_DEP_4) | instskip(NEXT) | instid1(VALU_DEP_3)
	v_add_co_ci_u32_e64 v41, s0, s11, v41, s0
	v_sub_nc_u16 v71, v103, v43
	v_sub_nc_u16 v73, v130, v42
	global_load_b128 v[48:51], v[40:41], off offset:1160
	v_lshlrev_b16 v40, 4, v71
	v_lshlrev_b16 v41, 4, v73
	v_mad_u16 v70, 0x1c2, v70, v71
	v_and_b32_e32 v126, 0xffff, v73
	s_delay_alu instid0(VALU_DEP_4) | instskip(NEXT) | instid1(VALU_DEP_4)
	v_and_b32_e32 v40, 0xffff, v40
	v_and_b32_e32 v42, 0xffff, v41
	s_delay_alu instid0(VALU_DEP_4) | instskip(NEXT) | instid1(VALU_DEP_3)
	v_and_b32_e32 v70, 0xffff, v70
	v_add_co_u32 v40, s0, s10, v40
	s_wait_alu 0xf1ff
	v_add_co_ci_u32_e64 v41, null, s11, 0, s0
	v_add_co_u32 v42, s0, s10, v42
	s_wait_alu 0xf1ff
	v_add_co_ci_u32_e64 v43, null, s11, 0, s0
	s_clause 0x1
	global_load_b128 v[44:47], v[40:41], off offset:1160
	global_load_b128 v[40:43], v[42:43], off offset:1160
	v_cmp_lt_u16_e64 s0, 14, v117
	global_wb scope:SCOPE_SE
	s_wait_loadcnt_dscnt 0x0
	s_barrier_signal -1
	s_barrier_wait -1
	global_inv scope:SCOPE_SE
	s_wait_alu 0xf1ff
	v_cndmask_b32_e64 v71, 0, 0x1c2, s0
	s_delay_alu instid0(VALU_DEP_1) | instskip(SKIP_4) | instid1(VALU_DEP_4)
	v_add_lshl_u32 v127, v72, v71, 3
	v_mul_f32_e32 v71, v34, v37
	v_mul_f32_e32 v73, v60, v39
	;; [unrolled: 1-line block ×3, first 2 shown]
	v_add_co_u32 v115, s0, s10, v74
	v_fmac_f32_e32 v71, v35, v36
	s_delay_alu instid0(VALU_DEP_4)
	v_fmac_f32_e32 v73, v61, v38
	v_lshlrev_b32_e32 v128, 3, v70
	v_mul_f32_e32 v70, v35, v37
	v_fma_f32 v35, v60, v38, -v72
	s_wait_alu 0xf1ff
	v_add_co_ci_u32_e64 v116, null, s11, 0, s0
	v_mul_f32_e32 v75, v62, v51
	v_fma_f32 v34, v34, v36, -v70
	s_delay_alu instid0(VALU_DEP_2) | instskip(NEXT) | instid1(VALU_DEP_2)
	v_dual_add_f32 v72, v53, v71 :: v_dual_fmac_f32 v75, v63, v50
	v_dual_add_f32 v60, v52, v34 :: v_dual_add_f32 v61, v34, v35
	v_sub_f32_e32 v74, v34, v35
	v_sub_f32_e32 v70, v71, v73
	v_add_f32_e32 v71, v71, v73
	s_delay_alu instid0(VALU_DEP_4) | instskip(NEXT) | instid1(VALU_DEP_2)
	v_fma_f32 v52, -0.5, v61, v52
	v_fma_f32 v53, -0.5, v71, v53
	v_dual_mul_f32 v71, v57, v49 :: v_dual_add_f32 v34, v60, v35
	v_add_f32_e32 v35, v72, v73
	v_dual_mul_f32 v72, v56, v49 :: v_dual_mul_f32 v73, v63, v51
	s_delay_alu instid0(VALU_DEP_4) | instskip(SKIP_2) | instid1(VALU_DEP_4)
	v_fmamk_f32 v61, v74, 0xbf5db3d7, v53
	v_fmac_f32_e32 v53, 0x3f5db3d7, v74
	v_fma_f32 v56, v56, v48, -v71
	v_dual_fmac_f32 v72, v57, v48 :: v_dual_mul_f32 v71, v67, v41
	v_fma_f32 v57, v62, v50, -v73
	v_fmamk_f32 v60, v70, 0x3f5db3d7, v52
	v_fmac_f32_e32 v52, 0xbf5db3d7, v70
	ds_store_2addr_b64 v118, v[34:35], v[60:61] offset1:150
	ds_store_b64 v118, v[52:53] offset:2400
	v_dual_sub_f32 v53, v72, v75 :: v_dual_add_f32 v34, v54, v56
	v_mul_f32_e32 v63, v69, v47
	v_add_f32_e32 v35, v56, v57
	v_sub_f32_e32 v56, v56, v57
	v_add_f32_e32 v60, v72, v75
	v_dual_add_f32 v52, v55, v72 :: v_dual_mul_f32 v73, v65, v43
	v_mul_f32_e32 v61, v59, v45
	v_mul_f32_e32 v62, v58, v45
	v_fma_f32 v54, -0.5, v35, v54
	s_delay_alu instid0(VALU_DEP_4)
	v_add_f32_e32 v35, v52, v75
	v_dual_fmac_f32 v55, -0.5, v60 :: v_dual_mul_f32 v72, v66, v41
	v_add_f32_e32 v34, v34, v57
	v_fma_f32 v57, v58, v44, -v61
	v_fma_f32 v58, v68, v46, -v63
	v_mul_f32_e32 v70, v68, v47
	v_fma_f32 v60, v64, v42, -v73
	v_fmamk_f32 v52, v53, 0x3f5db3d7, v54
	v_dual_fmac_f32 v54, 0xbf5db3d7, v53 :: v_dual_fmamk_f32 v53, v56, 0xbf5db3d7, v55
	v_fmac_f32_e32 v72, v67, v40
	v_fmac_f32_e32 v62, v59, v44
	v_fma_f32 v59, v66, v40, -v71
	v_add_f32_e32 v61, v57, v58
	v_dual_fmac_f32 v70, v69, v46 :: v_dual_fmac_f32 v55, 0x3f5db3d7, v56
	s_delay_alu instid0(VALU_DEP_3) | instskip(NEXT) | instid1(VALU_DEP_2)
	v_dual_add_f32 v67, v59, v60 :: v_dual_mul_f32 v74, v64, v43
	v_dual_sub_f32 v63, v62, v70 :: v_dual_add_f32 v56, v32, v57
	s_delay_alu instid0(VALU_DEP_4) | instskip(NEXT) | instid1(VALU_DEP_3)
	v_fma_f32 v32, -0.5, v61, v32
	v_fmac_f32_e32 v74, v65, v42
	v_sub_f32_e32 v65, v57, v58
	s_delay_alu instid0(VALU_DEP_2) | instskip(SKIP_2) | instid1(VALU_DEP_2)
	v_add_f32_e32 v71, v72, v74
	v_add_f32_e32 v64, v33, v62
	;; [unrolled: 1-line block ×4, first 2 shown]
	v_dual_add_f32 v69, v106, v72 :: v_dual_sub_f32 v68, v72, v74
	v_add_f32_e32 v66, v105, v59
	v_dual_sub_f32 v72, v59, v60 :: v_dual_fmac_f32 v105, -0.5, v67
	v_dual_fmac_f32 v106, -0.5, v71 :: v_dual_fmac_f32 v33, -0.5, v62
	v_add_f32_e32 v56, v56, v58
	s_delay_alu instid0(VALU_DEP_3) | instskip(SKIP_1) | instid1(VALU_DEP_4)
	v_dual_add_f32 v108, v69, v74 :: v_dual_fmamk_f32 v111, v68, 0x3f5db3d7, v105
	v_fmac_f32_e32 v105, 0xbf5db3d7, v68
	v_dual_add_f32 v107, v66, v60 :: v_dual_fmamk_f32 v112, v72, 0xbf5db3d7, v106
	v_fmac_f32_e32 v106, 0x3f5db3d7, v72
	v_fmamk_f32 v58, v63, 0x3f5db3d7, v32
	v_dual_fmamk_f32 v59, v65, 0xbf5db3d7, v33 :: v_dual_fmac_f32 v32, 0xbf5db3d7, v63
	v_fmac_f32_e32 v33, 0x3f5db3d7, v65
	ds_store_2addr_b64 v127, v[34:35], v[52:53] offset1:150
	ds_store_b64 v127, v[54:55] offset:2400
	ds_store_2addr_b64 v128, v[56:57], v[58:59] offset1:150
	ds_store_b64 v128, v[32:33] offset:2400
	s_and_saveexec_b32 s0, vcc_lo
	s_cbranch_execz .LBB0_9
; %bb.8:
	v_lshlrev_b32_e32 v32, 3, v126
	s_delay_alu instid0(VALU_DEP_1)
	v_add_nc_u32_e32 v33, 0x1c00, v32
	ds_store_2addr_b64 v33, v[107:108], v[111:112] offset0:4 offset1:154
	ds_store_b64 v32, v[105:106] offset:9600
.LBB0_9:
	s_wait_alu 0xfffe
	s_or_b32 exec_lo, exec_lo, s0
	v_add_nc_u32_e32 v32, 0x800, v118
	v_add_nc_u32_e32 v33, 0x1c00, v118
	;; [unrolled: 1-line block ×3, first 2 shown]
	global_wb scope:SCOPE_SE
	s_wait_dscnt 0x0
	s_barrier_signal -1
	s_barrier_wait -1
	global_inv scope:SCOPE_SE
	ds_load_2addr_b64 v[64:67], v118 offset1:135
	ds_load_2addr_b64 v[68:71], v32 offset0:14 offset1:194
	ds_load_2addr_b64 v[76:79], v33 offset0:4 offset1:139
	;; [unrolled: 1-line block ×3, first 2 shown]
	ds_load_b64 v[113:114], v118 offset:9360
	v_add_co_u32 v109, s0, s8, v118
	s_wait_alu 0xf1ff
	v_add_co_ci_u32_e64 v110, null, s9, 0, s0
	s_and_saveexec_b32 s0, vcc_lo
	s_cbranch_execz .LBB0_11
; %bb.10:
	ds_load_b64 v[107:108], v118 offset:3240
	ds_load_b64 v[111:112], v118 offset:6840
	;; [unrolled: 1-line block ×3, first 2 shown]
.LBB0_11:
	s_wait_alu 0xfffe
	s_or_b32 exec_lo, exec_lo, s0
	v_lshlrev_b64_e32 v[32:33], 4, v[103:104]
	v_lshlrev_b32_e32 v34, 4, v129
	global_load_b128 v[52:55], v[115:116], off offset:3560
	v_add_nc_u32_e32 v103, 0x2000, v118
	v_add_co_u32 v32, s0, s10, v32
	s_wait_alu 0xf1ff
	v_add_co_ci_u32_e64 v33, s0, s11, v33, s0
	s_clause 0x1
	global_load_b128 v[60:63], v34, s[10:11] offset:3560
	global_load_b128 v[56:59], v[32:33], off offset:3560
	v_add_co_u32 v32, s0, 0xffffffd3, v117
	s_wait_alu 0xf1ff
	v_add_co_ci_u32_e64 v33, null, 0, -1, s0
	s_delay_alu instid0(VALU_DEP_1) | instskip(NEXT) | instid1(VALU_DEP_1)
	v_dual_cndmask_b32 v32, v32, v130 :: v_dual_cndmask_b32 v33, v33, v131
	v_lshlrev_b64_e32 v[32:33], 4, v[32:33]
	s_delay_alu instid0(VALU_DEP_1) | instskip(SKIP_1) | instid1(VALU_DEP_2)
	v_add_co_u32 v32, s0, s10, v32
	s_wait_alu 0xf1ff
	v_add_co_ci_u32_e64 v33, s0, s11, v33, s0
	global_load_b128 v[32:35], v[32:33], off offset:3560
	s_wait_loadcnt_dscnt 0x303
	v_mul_f32_e32 v115, v70, v53
	v_mul_f32_e32 v104, v71, v53
	s_wait_dscnt 0x2
	v_mul_f32_e32 v116, v77, v55
	v_mul_f32_e32 v129, v76, v55
	v_fmac_f32_e32 v115, v71, v52
	v_fma_f32 v70, v70, v52, -v104
	s_delay_alu instid0(VALU_DEP_4)
	v_fma_f32 v71, v76, v54, -v116
	s_wait_loadcnt_dscnt 0x201
	v_mul_f32_e32 v76, v73, v61
	v_dual_mul_f32 v104, v72, v61 :: v_dual_fmac_f32 v129, v77, v54
	s_wait_loadcnt 0x1
	v_dual_mul_f32 v116, v79, v63 :: v_dual_mul_f32 v133, v74, v57
	v_mul_f32_e32 v130, v78, v63
	v_fma_f32 v72, v72, v60, -v76
	v_dual_fmac_f32 v104, v73, v60 :: v_dual_add_f32 v77, v70, v71
	s_delay_alu instid0(VALU_DEP_4) | instskip(NEXT) | instid1(VALU_DEP_4)
	v_fma_f32 v73, v78, v62, -v116
	v_dual_fmac_f32 v130, v79, v62 :: v_dual_add_f32 v79, v65, v115
	v_dual_add_f32 v76, v64, v70 :: v_dual_mul_f32 v131, v75, v57
	s_wait_dscnt 0x0
	v_dual_sub_f32 v116, v115, v129 :: v_dual_mul_f32 v135, v113, v59
	v_dual_add_f32 v115, v115, v129 :: v_dual_sub_f32 v70, v70, v71
	v_mul_f32_e32 v134, v114, v59
	v_add_f32_e32 v76, v76, v71
	v_fma_f32 v78, -0.5, v77, v64
	v_add_f32_e32 v77, v79, v129
	v_add_f32_e32 v129, v67, v104
	v_fma_f32 v79, -0.5, v115, v65
	v_dual_add_f32 v64, v66, v72 :: v_dual_sub_f32 v71, v104, v130
	v_add_f32_e32 v65, v72, v73
	v_dual_add_f32 v104, v104, v130 :: v_dual_fmac_f32 v133, v75, v56
	v_dual_sub_f32 v136, v72, v73 :: v_dual_fmac_f32 v135, v114, v58
	v_fma_f32 v74, v74, v56, -v131
	v_fma_f32 v131, v113, v58, -v134
	v_fmamk_f32 v113, v116, 0x3f5db3d7, v78
	v_dual_fmac_f32 v78, 0xbf5db3d7, v116 :: v_dual_add_f32 v115, v64, v73
	s_wait_loadcnt 0x0
	v_dual_fmamk_f32 v114, v70, 0xbf5db3d7, v79 :: v_dual_mul_f32 v73, v111, v33
	v_dual_fmac_f32 v79, 0x3f5db3d7, v70 :: v_dual_mul_f32 v64, v112, v33
	v_fma_f32 v66, -0.5, v65, v66
	v_dual_fmac_f32 v67, -0.5, v104 :: v_dual_mul_f32 v72, v105, v35
	v_dual_mul_f32 v65, v106, v35 :: v_dual_add_f32 v70, v68, v74
	v_add_f32_e32 v116, v129, v130
	v_dual_add_f32 v104, v74, v131 :: v_dual_add_f32 v137, v69, v133
	v_dual_sub_f32 v134, v133, v135 :: v_dual_fmamk_f32 v129, v71, 0x3f5db3d7, v66
	v_sub_f32_e32 v138, v74, v131
	v_dual_fmac_f32 v66, 0xbf5db3d7, v71 :: v_dual_fmac_f32 v73, v112, v32
	v_fma_f32 v74, v111, v32, -v64
	v_fma_f32 v75, v105, v34, -v65
	v_dual_fmac_f32 v72, v106, v34 :: v_dual_add_f32 v105, v137, v135
	v_dual_add_f32 v133, v133, v135 :: v_dual_fmamk_f32 v130, v136, 0xbf5db3d7, v67
	v_fma_f32 v68, -0.5, v104, v68
	s_delay_alu instid0(VALU_DEP_3) | instskip(SKIP_1) | instid1(VALU_DEP_4)
	v_dual_add_f32 v64, v74, v75 :: v_dual_add_f32 v65, v73, v72
	v_dual_fmac_f32 v67, 0x3f5db3d7, v136 :: v_dual_add_f32 v104, v70, v131
	v_fmac_f32_e32 v69, -0.5, v133
	s_delay_alu instid0(VALU_DEP_4)
	v_fmamk_f32 v111, v134, 0x3f5db3d7, v68
	v_dual_fmac_f32 v68, 0xbf5db3d7, v134 :: v_dual_sub_f32 v71, v73, v72
	v_fma_f32 v64, -0.5, v64, v107
	v_sub_f32_e32 v106, v74, v75
	v_fma_f32 v65, -0.5, v65, v108
	v_fmamk_f32 v112, v138, 0xbf5db3d7, v69
	s_delay_alu instid0(VALU_DEP_4) | instskip(NEXT) | instid1(VALU_DEP_3)
	v_dual_fmac_f32 v69, 0x3f5db3d7, v138 :: v_dual_fmamk_f32 v70, v71, 0x3f5db3d7, v64
	v_dual_fmac_f32 v64, 0xbf5db3d7, v71 :: v_dual_fmamk_f32 v71, v106, 0xbf5db3d7, v65
	v_fmac_f32_e32 v65, 0x3f5db3d7, v106
	ds_store_b64 v118, v[113:114] offset:3600
	ds_store_b64 v118, v[78:79] offset:7200
	ds_store_2addr_b64 v118, v[76:77], v[115:116] offset1:135
	ds_store_b64 v118, v[104:105] offset:2160
	ds_store_2addr_b64 v132, v[129:130], v[111:112] offset0:73 offset1:208
	ds_store_2addr_b64 v103, v[66:67], v[68:69] offset0:11 offset1:146
	s_and_saveexec_b32 s0, vcc_lo
	s_cbranch_execz .LBB0_13
; %bb.12:
	v_add_f32_e32 v66, v108, v73
	s_delay_alu instid0(VALU_DEP_1) | instskip(NEXT) | instid1(VALU_DEP_1)
	v_dual_add_f32 v68, v107, v74 :: v_dual_add_f32 v67, v66, v72
	v_add_f32_e32 v66, v68, v75
	ds_store_b64 v118, v[66:67] offset:3240
	ds_store_b64 v118, v[70:71] offset:6840
	;; [unrolled: 1-line block ×3, first 2 shown]
.LBB0_13:
	s_wait_alu 0xfffe
	s_or_b32 exec_lo, exec_lo, s0
	global_wb scope:SCOPE_SE
	s_wait_dscnt 0x0
	s_barrier_signal -1
	s_barrier_wait -1
	global_inv scope:SCOPE_SE
	global_load_b64 v[66:67], v[109:110], off offset:10800
	v_lshlrev_b32_e32 v68, 3, v117
	s_add_nc_u64 s[0:1], s[8:9], 0x2a30
	s_clause 0x8
	global_load_b64 v[129:130], v68, s[0:1] offset:1080
	global_load_b64 v[131:132], v68, s[0:1] offset:2160
	;; [unrolled: 1-line block ×9, first 2 shown]
	ds_load_2addr_b64 v[72:75], v118 offset1:135
	v_add_nc_u32_e32 v116, 0x1800, v118
	v_add_nc_u32_e32 v148, 0xc00, v118
	s_wait_loadcnt_dscnt 0x900
	v_dual_mul_f32 v68, v73, v67 :: v_dual_add_nc_u32 v69, 0x800, v118
	v_mul_f32_e32 v77, v72, v67
	s_wait_loadcnt 0x8
	v_mul_f32_e32 v67, v74, v130
	s_delay_alu instid0(VALU_DEP_3) | instskip(NEXT) | instid1(VALU_DEP_3)
	v_fma_f32 v76, v72, v66, -v68
	v_fmac_f32_e32 v77, v73, v66
	s_delay_alu instid0(VALU_DEP_3)
	v_dual_fmac_f32 v67, v75, v129 :: v_dual_add_nc_u32 v68, 0x1000, v118
	v_mul_f32_e32 v66, v75, v130
	v_add_nc_u32_e32 v72, 0x1c00, v118
	ds_store_b64 v118, v[76:77]
	ds_load_2addr_b64 v[76:79], v69 offset0:14 offset1:149
	ds_load_2addr_b64 v[104:107], v68 offset0:28 offset1:163
	;; [unrolled: 1-line block ×4, first 2 shown]
	v_add_nc_u32_e32 v147, 0x400, v118
	v_fma_f32 v66, v74, v129, -v66
	s_wait_loadcnt_dscnt 0x303
	v_dual_mul_f32 v152, v79, v140 :: v_dual_add_nc_u32 v149, 0x1400, v118
	v_mul_f32_e32 v73, v77, v132
	s_wait_dscnt 0x2
	v_dual_mul_f32 v74, v76, v132 :: v_dual_mul_f32 v75, v105, v134
	v_mul_f32_e32 v130, v104, v134
	s_wait_dscnt 0x1
	v_mul_f32_e32 v150, v109, v136
	v_mul_f32_e32 v132, v108, v136
	s_wait_dscnt 0x0
	v_dual_mul_f32 v136, v78, v140 :: v_dual_mul_f32 v151, v113, v138
	s_wait_loadcnt 0x1
	v_mul_f32_e32 v154, v111, v144
	v_mul_f32_e32 v134, v112, v138
	v_dual_mul_f32 v153, v107, v142 :: v_dual_mul_f32 v140, v110, v144
	v_mul_f32_e32 v138, v106, v142
	s_wait_loadcnt 0x0
	v_mul_f32_e32 v144, v115, v146
	v_mul_f32_e32 v142, v114, v146
	v_fma_f32 v73, v76, v131, -v73
	v_fmac_f32_e32 v74, v77, v131
	v_fma_f32 v129, v104, v133, -v75
	v_fmac_f32_e32 v130, v105, v133
	;; [unrolled: 2-line block ×8, first 2 shown]
	ds_store_2addr_b64 v147, v[66:67], v[73:74] offset0:7 offset1:142
	ds_store_2addr_b64 v148, v[135:136], v[129:130] offset0:21 offset1:156
	;; [unrolled: 1-line block ×4, first 2 shown]
	ds_store_b64 v118, v[141:142] offset:9720
	global_wb scope:SCOPE_SE
	s_wait_dscnt 0x0
	s_barrier_signal -1
	s_barrier_wait -1
	global_inv scope:SCOPE_SE
	ds_load_2addr_b64 v[73:76], v118 offset1:135
	ds_load_2addr_b64 v[104:107], v69 offset0:14 offset1:149
	ds_load_2addr_b64 v[108:111], v68 offset0:28 offset1:163
	;; [unrolled: 1-line block ×4, first 2 shown]
	global_wb scope:SCOPE_SE
	s_wait_dscnt 0x0
	s_barrier_signal -1
	s_barrier_wait -1
	global_inv scope:SCOPE_SE
	v_dual_add_f32 v153, v76, v107 :: v_dual_add_f32 v66, v73, v104
	v_add_f32_e32 v67, v108, v112
	v_sub_f32_e32 v155, v106, v131
	v_add_f32_e32 v137, v74, v105
	v_sub_f32_e32 v139, v104, v129
	;; [unrolled: 2-line block ×3, first 2 shown]
	v_sub_f32_e32 v133, v109, v113
	v_sub_f32_e32 v77, v104, v108
	v_dual_sub_f32 v78, v129, v112 :: v_dual_sub_f32 v157, v132, v115
	v_add_f32_e32 v134, v104, v129
	v_sub_f32_e32 v135, v108, v104
	v_dual_sub_f32 v140, v108, v112 :: v_dual_sub_f32 v141, v130, v113
	v_add_f32_e32 v145, v110, v114
	v_add_f32_e32 v108, v66, v108
	v_fma_f32 v66, -0.5, v67, v73
	v_fma_f32 v67, -0.5, v138, v74
	v_sub_f32_e32 v104, v105, v109
	v_add_f32_e32 v142, v105, v130
	v_sub_f32_e32 v105, v109, v105
	v_dual_add_f32 v109, v137, v109 :: v_dual_add_f32 v150, v106, v131
	v_dual_sub_f32 v136, v112, v129 :: v_dual_sub_f32 v159, v115, v132
	v_sub_f32_e32 v143, v113, v130
	v_dual_sub_f32 v147, v111, v115 :: v_dual_sub_f32 v148, v106, v110
	v_sub_f32_e32 v149, v131, v114
	v_add_f32_e32 v144, v75, v106
	v_sub_f32_e32 v151, v110, v106
	v_add_f32_e32 v160, v77, v78
	v_fma_f32 v77, -0.5, v145, v75
	v_add_f32_e32 v113, v109, v113
	v_fma_f32 v75, -0.5, v150, v75
	v_sub_f32_e32 v156, v110, v114
	v_sub_f32_e32 v106, v107, v111
	v_sub_f32_e32 v146, v107, v132
	v_add_f32_e32 v158, v107, v132
	v_sub_f32_e32 v107, v111, v107
	v_fma_f32 v73, -0.5, v134, v73
	v_dual_add_f32 v134, v135, v136 :: v_dual_add_f32 v113, v113, v130
	v_dual_add_f32 v136, v105, v143 :: v_dual_fmamk_f32 v105, v139, 0x3f737871, v67
	v_fmac_f32_e32 v67, 0xbf737871, v139
	v_add_f32_e32 v135, v104, v141
	v_dual_add_f32 v141, v106, v157 :: v_dual_add_f32 v154, v111, v115
	v_add_f32_e32 v111, v153, v111
	v_fmamk_f32 v106, v133, 0x3f737871, v73
	v_fmac_f32_e32 v73, 0xbf737871, v133
	v_fma_f32 v74, -0.5, v142, v74
	v_add_f32_e32 v137, v148, v149
	v_dual_add_f32 v110, v144, v110 :: v_dual_fmac_f32 v67, 0xbf167918, v140
	v_dual_add_f32 v115, v111, v115 :: v_dual_add_f32 v112, v108, v112
	v_fmamk_f32 v108, v146, 0xbf737871, v77
	v_fmac_f32_e32 v77, 0x3f737871, v146
	v_fma_f32 v78, -0.5, v154, v76
	v_dual_fmac_f32 v73, 0x3f167918, v79 :: v_dual_fmac_f32 v76, -0.5, v158
	v_fmamk_f32 v104, v79, 0xbf737871, v66
	s_delay_alu instid0(VALU_DEP_3)
	v_dual_sub_f32 v152, v114, v131 :: v_dual_fmamk_f32 v109, v155, 0x3f737871, v78
	v_add_f32_e32 v114, v110, v114
	v_fmamk_f32 v110, v147, 0x3f737871, v75
	v_fmac_f32_e32 v75, 0xbf737871, v147
	v_dual_add_f32 v142, v107, v159 :: v_dual_fmamk_f32 v107, v140, 0xbf737871, v74
	v_fmac_f32_e32 v74, 0x3f737871, v140
	v_dual_fmac_f32 v66, 0x3f737871, v79 :: v_dual_add_f32 v115, v115, v132
	v_fmac_f32_e32 v77, 0x3f167918, v147
	v_fmamk_f32 v111, v156, 0xbf737871, v76
	v_fmac_f32_e32 v76, 0x3f737871, v156
	v_fmac_f32_e32 v78, 0xbf737871, v155
	;; [unrolled: 1-line block ×4, first 2 shown]
	v_dual_add_f32 v138, v151, v152 :: v_dual_fmac_f32 v107, 0x3f167918, v139
	v_fmac_f32_e32 v106, 0xbf167918, v79
	v_fmac_f32_e32 v74, 0xbf167918, v139
	;; [unrolled: 1-line block ×9, first 2 shown]
	v_dual_add_f32 v112, v112, v129 :: v_dual_fmac_f32 v73, 0x3e9e377a, v134
	v_fmac_f32_e32 v78, 0xbf167918, v156
	v_dual_fmac_f32 v104, 0x3e9e377a, v160 :: v_dual_fmac_f32 v105, 0x3e9e377a, v135
	v_dual_add_f32 v114, v114, v131 :: v_dual_fmac_f32 v107, 0x3e9e377a, v136
	v_dual_fmac_f32 v106, 0x3e9e377a, v134 :: v_dual_fmac_f32 v77, 0x3e9e377a, v137
	v_dual_fmac_f32 v74, 0x3e9e377a, v136 :: v_dual_fmac_f32 v75, 0x3e9e377a, v138
	;; [unrolled: 1-line block ×5, first 2 shown]
	v_fmac_f32_e32 v76, 0x3e9e377a, v142
	v_fmac_f32_e32 v78, 0x3e9e377a, v141
	ds_store_2addr_b64 v121, v[112:113], v[104:105] offset1:1
	ds_store_2addr_b64 v121, v[106:107], v[73:74] offset0:2 offset1:3
	ds_store_b64 v121, v[66:67] offset:32
	ds_store_2addr_b64 v120, v[114:115], v[108:109] offset1:1
	ds_store_2addr_b64 v120, v[110:111], v[75:76] offset0:2 offset1:3
	ds_store_b64 v120, v[77:78] offset:32
	global_wb scope:SCOPE_SE
	s_wait_dscnt 0x0
	s_barrier_signal -1
	s_barrier_wait -1
	global_inv scope:SCOPE_SE
	ds_load_2addr_b64 v[73:76], v118 offset1:135
	ds_load_2addr_b64 v[104:107], v69 offset0:14 offset1:149
	ds_load_2addr_b64 v[108:111], v68 offset0:28 offset1:163
	;; [unrolled: 1-line block ×4, first 2 shown]
	global_wb scope:SCOPE_SE
	s_wait_dscnt 0x0
	s_barrier_signal -1
	s_barrier_wait -1
	global_inv scope:SCOPE_SE
	v_mul_f32_e32 v67, v15, v105
	v_mul_f32_e32 v77, v9, v107
	;; [unrolled: 1-line block ×3, first 2 shown]
	v_dual_mul_f32 v121, v102, v132 :: v_dual_mul_f32 v78, v11, v109
	v_mul_f32_e32 v11, v11, v108
	v_mul_f32_e32 v15, v15, v104
	v_fmac_f32_e32 v67, v14, v104
	s_delay_alu instid0(VALU_DEP_4)
	v_dual_fmac_f32 v121, v101, v131 :: v_dual_mul_f32 v120, v3, v130
	v_fmac_f32_e32 v77, v8, v106
	v_fma_f32 v8, v8, v107, -v9
	v_fma_f32 v9, v10, v109, -v11
	v_fmac_f32_e32 v78, v10, v108
	v_mul_f32_e32 v66, v13, v76
	v_mul_f32_e32 v13, v13, v75
	;; [unrolled: 1-line block ×3, first 2 shown]
	v_fmac_f32_e32 v120, v2, v129
	v_mul_f32_e32 v116, v1, v115
	v_mul_f32_e32 v1, v1, v114
	v_dual_sub_f32 v11, v67, v78 :: v_dual_fmac_f32 v66, v12, v75
	v_fma_f32 v12, v12, v76, -v13
	v_fma_f32 v13, v14, v105, -v15
	v_mul_f32_e32 v79, v5, v111
	v_mul_f32_e32 v5, v5, v110
	;; [unrolled: 1-line block ×4, first 2 shown]
	v_add_f32_e32 v15, v67, v120
	v_dual_sub_f32 v105, v13, v9 :: v_dual_fmac_f32 v116, v0, v114
	v_sub_f32_e32 v75, v78, v67
	v_fma_f32 v0, v0, v115, -v1
	v_fma_f32 v1, v2, v130, -v3
	v_dual_mul_f32 v102, v102, v131 :: v_dual_fmac_f32 v79, v4, v110
	v_fma_f32 v4, v4, v111, -v5
	v_fmac_f32_e32 v103, v6, v112
	v_fma_f32 v5, v6, v113, -v7
	v_sub_f32_e32 v7, v13, v1
	v_fma_f32 v2, v101, v132, -v102
	v_add_f32_e32 v3, v73, v67
	v_add_f32_e32 v101, v74, v13
	v_dual_add_f32 v102, v9, v5 :: v_dual_sub_f32 v133, v79, v116
	v_add_f32_e32 v107, v13, v1
	v_dual_add_f32 v109, v66, v77 :: v_dual_add_f32 v110, v79, v116
	v_dual_sub_f32 v111, v8, v2 :: v_dual_add_f32 v6, v78, v103
	v_dual_sub_f32 v67, v67, v120 :: v_dual_sub_f32 v14, v120, v103
	v_dual_sub_f32 v76, v103, v120 :: v_dual_sub_f32 v13, v9, v13
	v_dual_sub_f32 v10, v9, v5 :: v_dual_add_f32 v131, v12, v8
	v_dual_sub_f32 v104, v78, v103 :: v_dual_add_f32 v115, v77, v121
	v_dual_sub_f32 v106, v1, v5 :: v_dual_sub_f32 v135, v2, v0
	v_dual_sub_f32 v108, v5, v1 :: v_dual_sub_f32 v137, v0, v2
	;; [unrolled: 1-line block ×4, first 2 shown]
	v_dual_sub_f32 v130, v116, v121 :: v_dual_add_f32 v3, v3, v78
	v_dual_add_f32 v132, v4, v0 :: v_dual_sub_f32 v77, v77, v121
	v_dual_sub_f32 v134, v8, v4 :: v_dual_add_f32 v9, v101, v9
	v_add_f32_e32 v136, v8, v2
	v_sub_f32_e32 v8, v4, v8
	v_fma_f32 v78, -0.5, v6, v73
	v_dual_add_f32 v6, v11, v14 :: v_dual_add_f32 v13, v13, v108
	v_fma_f32 v15, -0.5, v15, v73
	v_add_f32_e32 v11, v75, v76
	v_fma_f32 v75, -0.5, v102, v74
	v_fma_f32 v74, -0.5, v107, v74
	v_add_f32_e32 v73, v109, v79
	v_fma_f32 v76, -0.5, v110, v66
	v_dual_add_f32 v14, v105, v106 :: v_dual_add_f32 v105, v134, v135
	v_dual_add_f32 v79, v113, v114 :: v_dual_fmac_f32 v66, -0.5, v115
	v_dual_add_f32 v101, v129, v130 :: v_dual_add_f32 v4, v131, v4
	v_fma_f32 v102, -0.5, v132, v12
	v_dual_fmac_f32 v12, -0.5, v136 :: v_dual_add_f32 v3, v3, v103
	v_dual_add_f32 v8, v8, v137 :: v_dual_fmamk_f32 v103, v7, 0xbf737871, v78
	v_dual_fmac_f32 v78, 0x3f737871, v7 :: v_dual_add_f32 v5, v9, v5
	v_dual_fmamk_f32 v106, v10, 0x3f737871, v15 :: v_dual_add_f32 v9, v73, v116
	v_dual_fmac_f32 v15, 0xbf737871, v10 :: v_dual_fmamk_f32 v108, v104, 0xbf737871, v74
	v_dual_fmamk_f32 v107, v67, 0x3f737871, v75 :: v_dual_fmac_f32 v74, 0x3f737871, v104
	v_fmac_f32_e32 v75, 0xbf737871, v67
	v_dual_fmamk_f32 v73, v111, 0xbf737871, v76 :: v_dual_add_f32 v0, v4, v0
	v_dual_fmac_f32 v76, 0x3f737871, v111 :: v_dual_add_f32 v3, v3, v120
	v_fmamk_f32 v4, v77, 0x3f737871, v102
	v_dual_fmac_f32 v103, 0xbf167918, v10 :: v_dual_fmac_f32 v106, 0xbf167918, v7
	v_dual_fmac_f32 v78, 0x3f167918, v10 :: v_dual_fmac_f32 v15, 0x3f167918, v7
	v_dual_fmac_f32 v74, 0xbf167918, v67 :: v_dual_add_f32 v7, v9, v121
	v_fmac_f32_e32 v76, 0x3f167918, v112
	v_fmamk_f32 v109, v112, 0x3f737871, v66
	v_fmac_f32_e32 v66, 0xbf737871, v112
	v_fmac_f32_e32 v75, 0xbf167918, v104
	v_dual_add_f32 v9, v0, v2 :: v_dual_fmac_f32 v74, 0x3e9e377a, v13
	v_dual_add_f32 v5, v5, v1 :: v_dual_fmac_f32 v108, 0x3f167918, v67
	s_delay_alu instid0(VALU_DEP_3) | instskip(SKIP_4) | instid1(VALU_DEP_4)
	v_fmac_f32_e32 v75, 0x3e9e377a, v14
	v_dual_fmac_f32 v4, 0x3f167918, v133 :: v_dual_fmac_f32 v107, 0x3f167918, v104
	v_fmac_f32_e32 v66, 0x3f167918, v111
	v_fmac_f32_e32 v73, 0xbf167918, v112
	v_dual_fmac_f32 v103, 0x3e9e377a, v6 :: v_dual_fmac_f32 v106, 0x3e9e377a, v11
	v_dual_fmac_f32 v4, 0x3e9e377a, v105 :: v_dual_fmac_f32 v107, 0x3e9e377a, v14
	s_delay_alu instid0(VALU_DEP_3) | instskip(SKIP_1) | instid1(VALU_DEP_3)
	v_dual_fmac_f32 v108, 0x3e9e377a, v13 :: v_dual_fmac_f32 v73, 0x3e9e377a, v79
	v_fmac_f32_e32 v66, 0x3e9e377a, v101
	v_mul_f32_e32 v13, 0xbf167918, v4
	v_fmac_f32_e32 v76, 0x3e9e377a, v79
	v_dual_add_f32 v0, v3, v7 :: v_dual_add_f32 v1, v5, v9
	v_dual_fmac_f32 v78, 0x3e9e377a, v6 :: v_dual_fmac_f32 v15, 0x3e9e377a, v11
	s_delay_alu instid0(VALU_DEP_4) | instskip(SKIP_2) | instid1(VALU_DEP_3)
	v_fmac_f32_e32 v13, 0x3f4f1bbd, v73
	v_dual_mul_f32 v79, 0x3f4f1bbd, v4 :: v_dual_sub_f32 v2, v3, v7
	v_sub_f32_e32 v3, v5, v9
	v_add_f32_e32 v4, v103, v13
	s_delay_alu instid0(VALU_DEP_3) | instskip(SKIP_3) | instid1(VALU_DEP_2)
	v_fmac_f32_e32 v79, 0x3f167918, v73
	v_fmamk_f32 v110, v133, 0xbf737871, v12
	v_fmac_f32_e32 v12, 0x3f737871, v133
	v_fmac_f32_e32 v109, 0xbf167918, v111
	v_dual_add_f32 v5, v107, v79 :: v_dual_fmac_f32 v12, 0xbf167918, v77
	s_delay_alu instid0(VALU_DEP_1) | instskip(NEXT) | instid1(VALU_DEP_1)
	v_dual_fmac_f32 v109, 0x3e9e377a, v101 :: v_dual_fmac_f32 v12, 0x3e9e377a, v8
	v_dual_fmac_f32 v102, 0xbf737871, v77 :: v_dual_mul_f32 v67, 0xbf737871, v12
	v_mul_f32_e32 v104, 0xbe9e377a, v12
	s_delay_alu instid0(VALU_DEP_2)
	v_fmac_f32_e32 v102, 0xbf167918, v133
	v_sub_f32_e32 v12, v103, v13
	v_sub_f32_e32 v13, v107, v79
	v_fmac_f32_e32 v67, 0xbe9e377a, v66
	v_fmac_f32_e32 v110, 0x3f167918, v77
	;; [unrolled: 1-line block ×3, first 2 shown]
	s_delay_alu instid0(VALU_DEP_3) | instskip(NEXT) | instid1(VALU_DEP_3)
	v_dual_fmac_f32 v104, 0x3f737871, v66 :: v_dual_sub_f32 v73, v15, v67
	v_fmac_f32_e32 v110, 0x3e9e377a, v8
	s_delay_alu instid0(VALU_DEP_3) | instskip(NEXT) | instid1(VALU_DEP_3)
	v_dual_mul_f32 v77, 0xbf167918, v102 :: v_dual_add_f32 v8, v15, v67
	v_dual_mul_f32 v102, 0xbf4f1bbd, v102 :: v_dual_add_f32 v9, v74, v104
	s_delay_alu instid0(VALU_DEP_3) | instskip(NEXT) | instid1(VALU_DEP_3)
	v_mul_f32_e32 v101, 0x3e9e377a, v110
	v_fmac_f32_e32 v77, 0xbf4f1bbd, v76
	v_sub_f32_e32 v74, v74, v104
	s_delay_alu instid0(VALU_DEP_4) | instskip(NEXT) | instid1(VALU_DEP_4)
	v_fmac_f32_e32 v102, 0x3f167918, v76
	v_fmac_f32_e32 v101, 0x3f737871, v109
	s_delay_alu instid0(VALU_DEP_4) | instskip(NEXT) | instid1(VALU_DEP_3)
	v_add_f32_e32 v10, v78, v77
	v_dual_sub_f32 v66, v78, v77 :: v_dual_sub_f32 v67, v75, v102
	v_add_f32_e32 v11, v75, v102
	s_delay_alu instid0(VALU_DEP_4) | instskip(SKIP_1) | instid1(VALU_DEP_2)
	v_dual_add_f32 v7, v108, v101 :: v_dual_mul_f32 v14, 0xbf737871, v110
	v_sub_f32_e32 v15, v108, v101
	v_fmac_f32_e32 v14, 0x3e9e377a, v109
	s_delay_alu instid0(VALU_DEP_1)
	v_add_f32_e32 v6, v106, v14
	v_sub_f32_e32 v14, v106, v14
	ds_store_2addr_b64 v119, v[0:1], v[4:5] offset1:5
	ds_store_2addr_b64 v119, v[6:7], v[8:9] offset0:10 offset1:15
	ds_store_2addr_b64 v119, v[10:11], v[2:3] offset0:20 offset1:25
	;; [unrolled: 1-line block ×4, first 2 shown]
	global_wb scope:SCOPE_SE
	s_wait_dscnt 0x0
	s_barrier_signal -1
	s_barrier_wait -1
	global_inv scope:SCOPE_SE
	ds_load_2addr_b64 v[4:7], v118 offset1:135
	ds_load_2addr_b64 v[0:3], v69 offset0:14 offset1:194
	ds_load_2addr_b64 v[12:15], v72 offset0:4 offset1:139
	;; [unrolled: 1-line block ×3, first 2 shown]
	ds_load_b64 v[68:69], v118 offset:9360
	s_and_saveexec_b32 s0, vcc_lo
	s_cbranch_execz .LBB0_15
; %bb.14:
	ds_load_b64 v[66:67], v118 offset:3240
	ds_load_b64 v[70:71], v118 offset:6840
	;; [unrolled: 1-line block ×3, first 2 shown]
.LBB0_15:
	s_wait_alu 0xfffe
	s_or_b32 exec_lo, exec_lo, s0
	s_wait_dscnt 0x2
	v_dual_mul_f32 v72, v29, v3 :: v_dual_mul_f32 v73, v31, v13
	v_mul_f32_e32 v29, v29, v2
	v_mul_f32_e32 v31, v31, v12
	global_wb scope:SCOPE_SE
	s_wait_dscnt 0x0
	v_dual_fmac_f32 v72, v28, v2 :: v_dual_fmac_f32 v73, v30, v12
	v_fma_f32 v3, v28, v3, -v29
	v_mul_f32_e32 v28, v25, v9
	v_mul_f32_e32 v2, v25, v8
	v_fma_f32 v12, v30, v13, -v31
	v_mul_f32_e32 v13, v27, v15
	s_delay_alu instid0(VALU_DEP_4) | instskip(SKIP_2) | instid1(VALU_DEP_4)
	v_dual_mul_f32 v25, v21, v11 :: v_dual_fmac_f32 v28, v24, v8
	v_mul_f32_e32 v8, v27, v14
	v_fma_f32 v24, v24, v9, -v2
	v_fmac_f32_e32 v13, v26, v14
	v_mul_f32_e32 v2, v21, v10
	v_fmac_f32_e32 v25, v20, v10
	v_fma_f32 v14, v26, v15, -v8
	v_mul_f32_e32 v15, v23, v69
	v_mul_f32_e32 v8, v23, v68
	v_fma_f32 v20, v20, v11, -v2
	v_mul_f32_e32 v23, v17, v71
	s_delay_alu instid0(VALU_DEP_4) | instskip(NEXT) | instid1(VALU_DEP_4)
	v_dual_mul_f32 v2, v17, v70 :: v_dual_fmac_f32 v15, v22, v68
	v_fma_f32 v17, v22, v69, -v8
	v_mul_f32_e32 v22, v19, v65
	s_delay_alu instid0(VALU_DEP_4) | instskip(NEXT) | instid1(VALU_DEP_4)
	v_dual_mul_f32 v8, v19, v64 :: v_dual_fmac_f32 v23, v16, v70
	v_fma_f32 v16, v16, v71, -v2
	v_add_f32_e32 v2, v72, v73
	v_sub_f32_e32 v11, v72, v73
	s_delay_alu instid0(VALU_DEP_4)
	v_fma_f32 v19, v18, v65, -v8
	v_add_f32_e32 v8, v3, v12
	v_sub_f32_e32 v10, v3, v12
	v_fma_f32 v2, -0.5, v2, v4
	v_add_f32_e32 v9, v4, v72
	v_fmac_f32_e32 v22, v18, v64
	s_barrier_signal -1
	v_add_f32_e32 v21, v7, v24
	s_barrier_wait -1
	v_add_f32_e32 v4, v9, v73
	v_add_f32_e32 v9, v5, v3
	v_fma_f32 v3, -0.5, v8, v5
	global_inv scope:SCOPE_SE
	v_add_f32_e32 v5, v9, v12
	v_fmamk_f32 v9, v11, 0x3f5db3d7, v3
	v_dual_fmac_f32 v3, 0xbf5db3d7, v11 :: v_dual_fmamk_f32 v8, v10, 0xbf5db3d7, v2
	v_fmac_f32_e32 v2, 0x3f5db3d7, v10
	v_add_f32_e32 v10, v28, v13
	v_dual_add_f32 v12, v6, v28 :: v_dual_add_f32 v11, v24, v14
	v_sub_f32_e32 v18, v24, v14
	v_sub_f32_e32 v24, v28, v13
	s_delay_alu instid0(VALU_DEP_4) | instskip(NEXT) | instid1(VALU_DEP_4)
	v_fma_f32 v6, -0.5, v10, v6
	v_dual_add_f32 v10, v12, v13 :: v_dual_fmac_f32 v7, -0.5, v11
	v_add_f32_e32 v11, v21, v14
	v_dual_add_f32 v14, v25, v15 :: v_dual_add_f32 v21, v20, v17
	s_delay_alu instid0(VALU_DEP_4) | instskip(SKIP_2) | instid1(VALU_DEP_4)
	v_fmamk_f32 v12, v18, 0xbf5db3d7, v6
	v_fmac_f32_e32 v6, 0x3f5db3d7, v18
	v_add_f32_e32 v18, v0, v25
	v_fma_f32 v0, -0.5, v14, v0
	v_sub_f32_e32 v25, v25, v15
	v_fmamk_f32 v13, v24, 0x3f5db3d7, v7
	s_delay_alu instid0(VALU_DEP_4) | instskip(SKIP_1) | instid1(VALU_DEP_1)
	v_dual_fmac_f32 v7, 0xbf5db3d7, v24 :: v_dual_add_f32 v14, v18, v15
	v_dual_add_f32 v18, v1, v20 :: v_dual_fmac_f32 v1, -0.5, v21
	v_dual_sub_f32 v24, v20, v17 :: v_dual_fmamk_f32 v21, v25, 0x3f5db3d7, v1
	s_delay_alu instid0(VALU_DEP_1) | instskip(NEXT) | instid1(VALU_DEP_3)
	v_dual_fmac_f32 v1, 0xbf5db3d7, v25 :: v_dual_fmamk_f32 v20, v24, 0xbf5db3d7, v0
	v_add_f32_e32 v15, v18, v17
	v_dual_add_f32 v17, v23, v22 :: v_dual_add_f32 v18, v16, v19
	v_add_f32_e32 v25, v67, v16
	v_fmac_f32_e32 v0, 0x3f5db3d7, v24
	v_add_f32_e32 v24, v66, v23
	s_delay_alu instid0(VALU_DEP_4) | instskip(SKIP_2) | instid1(VALU_DEP_4)
	v_dual_fmac_f32 v66, -0.5, v17 :: v_dual_sub_f32 v23, v23, v22
	v_sub_f32_e32 v17, v16, v19
	v_fmac_f32_e32 v67, -0.5, v18
	v_add_f32_e32 v16, v24, v22
	ds_store_2addr_b64 v124, v[4:5], v[8:9] offset1:50
	ds_store_b64 v124, v[2:3] offset:800
	ds_store_2addr_b64 v125, v[10:11], v[12:13] offset1:50
	ds_store_b64 v125, v[6:7] offset:800
	;; [unrolled: 2-line block ×3, first 2 shown]
	v_fmamk_f32 v18, v17, 0xbf5db3d7, v66
	v_dual_fmac_f32 v66, 0x3f5db3d7, v17 :: v_dual_add_f32 v17, v25, v19
	v_fmamk_f32 v19, v23, 0x3f5db3d7, v67
	v_fmac_f32_e32 v67, 0xbf5db3d7, v23
	s_and_saveexec_b32 s0, vcc_lo
	s_cbranch_execz .LBB0_17
; %bb.16:
	v_lshlrev_b32_e32 v0, 3, v122
	s_delay_alu instid0(VALU_DEP_1)
	v_add_nc_u32_e32 v1, 0x2000, v0
	ds_store_2addr_b64 v1, v[16:17], v[18:19] offset0:176 offset1:226
	ds_store_b64 v0, v[66:67] offset:10400
.LBB0_17:
	s_wait_alu 0xfffe
	s_or_b32 exec_lo, exec_lo, s0
	v_add_nc_u32_e32 v0, 0x800, v118
	v_add_nc_u32_e32 v8, 0x1c00, v118
	;; [unrolled: 1-line block ×3, first 2 shown]
	global_wb scope:SCOPE_SE
	s_wait_dscnt 0x0
	s_barrier_signal -1
	s_barrier_wait -1
	global_inv scope:SCOPE_SE
	ds_load_2addr_b64 v[4:7], v118 offset1:135
	ds_load_2addr_b64 v[0:3], v0 offset0:14 offset1:194
	ds_load_2addr_b64 v[12:15], v8 offset0:4 offset1:139
	;; [unrolled: 1-line block ×3, first 2 shown]
	ds_load_b64 v[20:21], v118 offset:9360
	s_and_saveexec_b32 s0, vcc_lo
	s_cbranch_execz .LBB0_19
; %bb.18:
	ds_load_b64 v[16:17], v118 offset:3240
	ds_load_b64 v[18:19], v118 offset:6840
	;; [unrolled: 1-line block ×3, first 2 shown]
.LBB0_19:
	s_wait_alu 0xfffe
	s_or_b32 exec_lo, exec_lo, s0
	s_wait_dscnt 0x2
	v_dual_mul_f32 v22, v37, v3 :: v_dual_mul_f32 v25, v39, v12
	v_dual_mul_f32 v23, v37, v2 :: v_dual_mul_f32 v24, v39, v13
	s_wait_dscnt 0x1
	v_mul_f32_e32 v26, v45, v11
	s_delay_alu instid0(VALU_DEP_3)
	v_fmac_f32_e32 v22, v36, v2
	v_mul_f32_e32 v28, v41, v19
	v_fma_f32 v3, v36, v3, -v23
	v_dual_mul_f32 v23, v49, v9 :: v_dual_fmac_f32 v24, v38, v12
	v_fma_f32 v12, v38, v13, -v25
	v_dual_mul_f32 v13, v51, v15 :: v_dual_mul_f32 v2, v49, v8
	s_delay_alu instid0(VALU_DEP_3)
	v_dual_fmac_f32 v23, v48, v8 :: v_dual_mul_f32 v8, v51, v14
	global_wb scope:SCOPE_SE
	s_wait_dscnt 0x0
	v_fmac_f32_e32 v13, v50, v14
	v_fma_f32 v25, v48, v9, -v2
	v_add_f32_e32 v9, v4, v22
	v_fma_f32 v14, v50, v15, -v8
	v_dual_mul_f32 v15, v47, v21 :: v_dual_mul_f32 v2, v45, v10
	v_mul_f32_e32 v8, v47, v20
	v_fmac_f32_e32 v28, v40, v18
	s_delay_alu instid0(VALU_DEP_3) | instskip(NEXT) | instid1(VALU_DEP_4)
	v_dual_fmac_f32 v26, v44, v10 :: v_dual_fmac_f32 v15, v46, v20
	v_fma_f32 v27, v44, v11, -v2
	v_dual_mul_f32 v2, v41, v18 :: v_dual_sub_f32 v11, v22, v24
	v_fma_f32 v20, v46, v21, -v8
	v_sub_f32_e32 v10, v3, v12
	v_mul_f32_e32 v21, v43, v67
	s_delay_alu instid0(VALU_DEP_4)
	v_fma_f32 v18, v40, v19, -v2
	v_add_f32_e32 v2, v22, v24
	s_barrier_signal -1
	s_barrier_wait -1
	v_fmac_f32_e32 v21, v42, v66
	global_inv scope:SCOPE_SE
	v_fma_f32 v2, -0.5, v2, v4
	v_add_f32_e32 v4, v9, v24
	v_dual_add_f32 v9, v5, v3 :: v_dual_mul_f32 v8, v43, v66
	v_add_f32_e32 v24, v7, v25
	s_delay_alu instid0(VALU_DEP_2) | instskip(SKIP_1) | instid1(VALU_DEP_1)
	v_fma_f32 v19, v42, v67, -v8
	v_add_f32_e32 v8, v3, v12
	v_fma_f32 v3, -0.5, v8, v5
	v_dual_add_f32 v5, v9, v12 :: v_dual_add_f32 v12, v6, v23
	s_delay_alu instid0(VALU_DEP_2) | instskip(SKIP_2) | instid1(VALU_DEP_1)
	v_fmamk_f32 v9, v11, 0x3f5db3d7, v3
	v_fmac_f32_e32 v3, 0xbf5db3d7, v11
	v_dual_add_f32 v11, v25, v14 :: v_dual_fmamk_f32 v8, v10, 0xbf5db3d7, v2
	v_dual_fmac_f32 v7, -0.5, v11 :: v_dual_fmac_f32 v2, 0x3f5db3d7, v10
	v_dual_add_f32 v10, v23, v13 :: v_dual_add_f32 v11, v24, v14
	v_dual_sub_f32 v23, v23, v13 :: v_dual_sub_f32 v22, v25, v14
	v_add_f32_e32 v25, v1, v27
	s_delay_alu instid0(VALU_DEP_3) | instskip(NEXT) | instid1(VALU_DEP_3)
	v_fma_f32 v6, -0.5, v10, v6
	v_dual_add_f32 v10, v12, v13 :: v_dual_fmamk_f32 v13, v23, 0x3f5db3d7, v7
	v_fmac_f32_e32 v7, 0xbf5db3d7, v23
	s_delay_alu instid0(VALU_DEP_3) | instskip(SKIP_1) | instid1(VALU_DEP_2)
	v_dual_add_f32 v23, v27, v20 :: v_dual_fmamk_f32 v12, v22, 0xbf5db3d7, v6
	v_dual_sub_f32 v24, v27, v20 :: v_dual_add_f32 v27, v17, v18
	v_dual_fmac_f32 v1, -0.5, v23 :: v_dual_fmac_f32 v6, 0x3f5db3d7, v22
	v_add_f32_e32 v14, v26, v15
	v_add_f32_e32 v22, v0, v26
	v_sub_f32_e32 v26, v26, v15
	s_delay_alu instid0(VALU_DEP_1) | instskip(SKIP_4) | instid1(VALU_DEP_3)
	v_fmamk_f32 v23, v26, 0x3f5db3d7, v1
	v_fmac_f32_e32 v1, 0xbf5db3d7, v26
	v_fma_f32 v0, -0.5, v14, v0
	v_dual_add_f32 v14, v22, v15 :: v_dual_add_f32 v15, v25, v20
	v_dual_add_f32 v25, v16, v28 :: v_dual_sub_f32 v26, v18, v19
	v_fmamk_f32 v22, v24, 0xbf5db3d7, v0
	v_fmac_f32_e32 v0, 0x3f5db3d7, v24
	v_add_f32_e32 v24, v18, v19
	s_delay_alu instid0(VALU_DEP_4)
	v_dual_add_f32 v19, v27, v19 :: v_dual_add_f32 v18, v25, v21
	ds_store_2addr_b64 v118, v[4:5], v[8:9] offset1:150
	ds_store_b64 v118, v[2:3] offset:2400
	ds_store_2addr_b64 v127, v[10:11], v[12:13] offset1:150
	ds_store_b64 v127, v[6:7] offset:2400
	;; [unrolled: 2-line block ×3, first 2 shown]
	v_dual_fmac_f32 v17, -0.5, v24 :: v_dual_sub_f32 v24, v28, v21
	v_add_f32_e32 v20, v28, v21
	s_delay_alu instid0(VALU_DEP_2) | instskip(SKIP_1) | instid1(VALU_DEP_3)
	v_fmamk_f32 v21, v24, 0x3f5db3d7, v17
	v_fmac_f32_e32 v17, 0xbf5db3d7, v24
	v_fmac_f32_e32 v16, -0.5, v20
	s_delay_alu instid0(VALU_DEP_1)
	v_fmamk_f32 v20, v26, 0xbf5db3d7, v16
	v_fmac_f32_e32 v16, 0x3f5db3d7, v26
	s_and_saveexec_b32 s0, vcc_lo
	s_cbranch_execz .LBB0_21
; %bb.20:
	v_lshlrev_b32_e32 v0, 3, v126
	s_delay_alu instid0(VALU_DEP_1)
	v_add_nc_u32_e32 v1, 0x1c00, v0
	ds_store_2addr_b64 v1, v[18:19], v[20:21] offset0:4 offset1:154
	ds_store_b64 v0, v[16:17] offset:9600
.LBB0_21:
	s_wait_alu 0xfffe
	s_or_b32 exec_lo, exec_lo, s0
	v_add_nc_u32_e32 v4, 0x800, v118
	v_add_nc_u32_e32 v8, 0x1c00, v118
	;; [unrolled: 1-line block ×3, first 2 shown]
	global_wb scope:SCOPE_SE
	s_wait_dscnt 0x0
	s_barrier_signal -1
	s_barrier_wait -1
	global_inv scope:SCOPE_SE
	ds_load_2addr_b64 v[0:3], v118 offset1:135
	ds_load_2addr_b64 v[4:7], v4 offset0:14 offset1:194
	ds_load_2addr_b64 v[12:15], v8 offset0:4 offset1:139
	;; [unrolled: 1-line block ×3, first 2 shown]
	ds_load_b64 v[22:23], v118 offset:9360
	s_and_saveexec_b32 s0, vcc_lo
	s_cbranch_execz .LBB0_23
; %bb.22:
	ds_load_b64 v[18:19], v118 offset:3240
	ds_load_b64 v[20:21], v118 offset:6840
	;; [unrolled: 1-line block ×3, first 2 shown]
.LBB0_23:
	s_wait_alu 0xfffe
	s_or_b32 exec_lo, exec_lo, s0
	s_wait_dscnt 0x2
	v_dual_mul_f32 v25, v53, v7 :: v_dual_mul_f32 v28, v55, v12
	v_dual_mul_f32 v26, v53, v6 :: v_dual_mul_f32 v27, v55, v13
	s_wait_dscnt 0x1
	v_mul_f32_e32 v29, v57, v11
	s_delay_alu instid0(VALU_DEP_3) | instskip(NEXT) | instid1(VALU_DEP_3)
	v_dual_fmac_f32 v25, v52, v6 :: v_dual_mul_f32 v6, v61, v8
	v_fma_f32 v7, v52, v7, -v26
	v_dual_mul_f32 v26, v61, v9 :: v_dual_fmac_f32 v27, v54, v12
	v_fma_f32 v12, v54, v13, -v28
	v_mul_f32_e32 v13, v63, v15
	v_fma_f32 v28, v60, v9, -v6
	s_delay_alu instid0(VALU_DEP_4) | instskip(SKIP_4) | instid1(VALU_DEP_3)
	v_fmac_f32_e32 v26, v60, v8
	v_mul_f32_e32 v8, v63, v14
	v_dual_mul_f32 v6, v57, v10 :: v_dual_add_f32 v9, v0, v25
	s_wait_dscnt 0x0
	v_dual_fmac_f32 v13, v62, v14 :: v_dual_mul_f32 v30, v59, v23
	v_fma_f32 v15, v62, v15, -v8
	v_fmac_f32_e32 v29, v56, v10
	v_mul_f32_e32 v8, v59, v22
	v_fma_f32 v31, v56, v11, -v6
	v_add_f32_e32 v6, v25, v27
	v_add_f32_e32 v10, v7, v12
	v_fmac_f32_e32 v30, v58, v22
	v_fma_f32 v23, v58, v23, -v8
	v_add_f32_e32 v8, v9, v27
	v_fma_f32 v6, -0.5, v6, v0
	v_dual_sub_f32 v0, v7, v12 :: v_dual_add_f32 v9, v1, v7
	v_fma_f32 v7, -0.5, v10, v1
	v_dual_sub_f32 v1, v25, v27 :: v_dual_add_f32 v22, v3, v28
	s_delay_alu instid0(VALU_DEP_3) | instskip(NEXT) | instid1(VALU_DEP_2)
	v_add_f32_e32 v9, v9, v12
	v_fmamk_f32 v11, v1, 0x3f5db3d7, v7
	v_dual_fmac_f32 v7, 0xbf5db3d7, v1 :: v_dual_fmamk_f32 v10, v0, 0xbf5db3d7, v6
	v_dual_fmac_f32 v6, 0x3f5db3d7, v0 :: v_dual_add_f32 v1, v28, v15
	s_delay_alu instid0(VALU_DEP_1) | instskip(SKIP_4) | instid1(VALU_DEP_3)
	v_fmac_f32_e32 v3, -0.5, v1
	v_sub_f32_e32 v1, v26, v13
	v_add_f32_e32 v0, v26, v13
	v_add_f32_e32 v12, v2, v26
	v_add_f32_e32 v26, v5, v31
	v_fma_f32 v2, -0.5, v0, v2
	v_sub_f32_e32 v0, v28, v15
	s_delay_alu instid0(VALU_DEP_4) | instskip(SKIP_3) | instid1(VALU_DEP_1)
	v_dual_add_f32 v12, v12, v13 :: v_dual_add_f32 v13, v22, v15
	v_fmamk_f32 v15, v1, 0x3f5db3d7, v3
	v_fmac_f32_e32 v3, 0xbf5db3d7, v1
	v_dual_add_f32 v1, v31, v23 :: v_dual_add_f32 v22, v4, v29
	v_dual_fmac_f32 v5, -0.5, v1 :: v_dual_fmamk_f32 v14, v0, 0xbf5db3d7, v2
	v_dual_sub_f32 v1, v29, v30 :: v_dual_fmac_f32 v2, 0x3f5db3d7, v0
	v_add_f32_e32 v0, v29, v30
	s_delay_alu instid0(VALU_DEP_4) | instskip(NEXT) | instid1(VALU_DEP_2)
	v_add_f32_e32 v22, v22, v30
	v_fma_f32 v4, -0.5, v0, v4
	v_sub_f32_e32 v0, v31, v23
	s_delay_alu instid0(VALU_DEP_1)
	v_fmamk_f32 v25, v0, 0xbf5db3d7, v4
	v_fmac_f32_e32 v4, 0x3f5db3d7, v0
	v_dual_add_f32 v23, v26, v23 :: v_dual_add_nc_u32 v0, 0x2000, v118
	v_fmamk_f32 v26, v1, 0x3f5db3d7, v5
	v_fmac_f32_e32 v5, 0xbf5db3d7, v1
	ds_store_b64 v118, v[10:11] offset:3600
	ds_store_b64 v118, v[6:7] offset:7200
	ds_store_2addr_b64 v118, v[8:9], v[12:13] offset1:135
	ds_store_b64 v118, v[22:23] offset:2160
	ds_store_2addr_b64 v24, v[14:15], v[25:26] offset0:73 offset1:208
	ds_store_2addr_b64 v0, v[2:3], v[4:5] offset0:11 offset1:146
	s_and_saveexec_b32 s0, vcc_lo
	s_cbranch_execz .LBB0_25
; %bb.24:
	v_dual_mul_f32 v2, v35, v16 :: v_dual_mul_f32 v3, v33, v21
	s_delay_alu instid0(VALU_DEP_1) | instskip(SKIP_1) | instid1(VALU_DEP_3)
	v_fma_f32 v4, v34, v17, -v2
	v_mul_f32_e32 v5, v35, v17
	v_fmac_f32_e32 v3, v32, v20
	s_delay_alu instid0(VALU_DEP_2) | instskip(NEXT) | instid1(VALU_DEP_1)
	v_fmac_f32_e32 v5, v34, v16
	v_dual_mul_f32 v1, v33, v20 :: v_dual_add_f32 v6, v3, v5
	s_delay_alu instid0(VALU_DEP_1) | instskip(NEXT) | instid1(VALU_DEP_1)
	v_fma_f32 v1, v32, v21, -v1
	v_add_f32_e32 v2, v1, v4
	v_add_f32_e32 v8, v19, v1
	v_sub_f32_e32 v7, v3, v5
	v_add_f32_e32 v3, v18, v3
	s_delay_alu instid0(VALU_DEP_4) | instskip(SKIP_3) | instid1(VALU_DEP_4)
	v_fma_f32 v2, -0.5, v2, v19
	v_sub_f32_e32 v9, v1, v4
	v_fma_f32 v1, -0.5, v6, v18
	v_add_f32_e32 v4, v8, v4
	v_fmamk_f32 v6, v7, 0xbf5db3d7, v2
	v_dual_fmac_f32 v2, 0x3f5db3d7, v7 :: v_dual_add_f32 v3, v3, v5
	s_delay_alu instid0(VALU_DEP_4)
	v_fmamk_f32 v5, v9, 0x3f5db3d7, v1
	v_fmac_f32_e32 v1, 0xbf5db3d7, v9
	ds_store_b64 v118, v[3:4] offset:3240
	ds_store_b64 v118, v[1:2] offset:6840
	;; [unrolled: 1-line block ×3, first 2 shown]
.LBB0_25:
	s_wait_alu 0xfffe
	s_or_b32 exec_lo, exec_lo, s0
	global_wb scope:SCOPE_SE
	s_wait_dscnt 0x0
	s_barrier_signal -1
	s_barrier_wait -1
	global_inv scope:SCOPE_SE
	ds_load_2addr_b64 v[1:4], v118 offset1:135
	ds_load_2addr_b64 v[5:8], v0 offset0:56 offset1:191
	v_add_nc_u32_e32 v0, 0x800, v118
	v_mad_co_u64_u32 v[21:22], null, s6, v80, 0
	v_add_nc_u32_e32 v13, 0x1000, v118
	s_mov_b32 s0, 0xa0ce5129
	s_mov_b32 s1, 0x3f4845c8
	v_mad_co_u64_u32 v[23:24], null, s4, v117, 0
	s_wait_dscnt 0x1
	v_mul_f32_e32 v25, v84, v1
	ds_load_2addr_b64 v[9:12], v0 offset0:14 offset1:149
	v_dual_mul_f32 v31, v100, v4 :: v_dual_add_nc_u32 v0, 0x1800, v118
	ds_load_2addr_b64 v[13:16], v13 offset0:28 offset1:163
	ds_load_2addr_b64 v[17:20], v0 offset0:42 offset1:177
	v_mov_b32_e32 v0, v22
	v_mul_f32_e32 v22, v84, v2
	v_fma_f32 v25, v83, v2, -v25
	v_mul_f32_e32 v29, v100, v3
	s_wait_dscnt 0x3
	v_dual_mul_f32 v28, v92, v5 :: v_dual_fmac_f32 v31, v99, v3
	s_delay_alu instid0(VALU_DEP_3) | instskip(NEXT) | instid1(VALU_DEP_2)
	v_cvt_f64_f32_e32 v[25:26], v25
	v_fma_f32 v28, v91, v6, -v28
	s_wait_dscnt 0x2
	v_mul_f32_e32 v30, v98, v10
	v_mul_f32_e32 v32, v98, v9
	v_fma_f32 v36, v99, v4, -v29
	v_mul_f32_e32 v37, v86, v12
	s_wait_dscnt 0x1
	v_mul_f32_e32 v33, v82, v13
	v_dual_fmac_f32 v30, v97, v9 :: v_dual_mul_f32 v27, v92, v6
	v_fmac_f32_e32 v22, v83, v1
	s_wait_dscnt 0x0
	v_mul_f32_e32 v34, v96, v18
	v_mul_f32_e32 v35, v96, v17
	;; [unrolled: 1-line block ×3, first 2 shown]
	v_fmac_f32_e32 v27, v91, v5
	v_cvt_f64_f32_e32 v[1:2], v22
	v_mul_f32_e32 v22, v82, v14
	v_mul_f32_e32 v29, v86, v11
	v_fma_f32 v5, v97, v10, -v32
	v_cvt_f64_f32_e32 v[3:4], v30
	v_dual_mul_f32 v43, v90, v19 :: v_dual_fmac_f32 v34, v95, v17
	v_fmac_f32_e32 v22, v81, v13
	s_delay_alu instid0(VALU_DEP_4)
	v_cvt_f64_f32_e32 v[5:6], v5
	v_fma_f32 v30, v81, v14, -v33
	v_fmac_f32_e32 v37, v85, v11
	v_dual_mul_f32 v41, v88, v15 :: v_dual_mul_f32 v42, v90, v20
	v_cvt_f64_f32_e32 v[13:14], v22
	v_fma_f32 v22, v85, v12, -v29
	v_fma_f32 v32, v95, v18, -v35
	v_cvt_f64_f32_e32 v[17:18], v30
	v_cvt_f64_f32_e32 v[11:12], v34
	;; [unrolled: 1-line block ×5, first 2 shown]
	v_dual_mul_f32 v22, v94, v8 :: v_dual_fmac_f32 v39, v87, v15
	v_cvt_f64_f32_e32 v[29:30], v32
	v_fma_f32 v16, v87, v16, -v41
	v_fmac_f32_e32 v42, v89, v19
	s_delay_alu instid0(VALU_DEP_4)
	v_fmac_f32_e32 v22, v93, v7
	v_fma_f32 v19, v89, v20, -v43
	v_cvt_f64_f32_e32 v[9:10], v27
	v_cvt_f64_f32_e32 v[27:28], v28
	;; [unrolled: 1-line block ×3, first 2 shown]
	s_wait_alu 0xfffe
	v_mul_f64_e32 v[25:26], s[0:1], v[25:26]
	v_cvt_f64_f32_e32 v[19:20], v19
	v_mul_f64_e32 v[1:2], s[0:1], v[1:2]
	v_mul_f64_e32 v[3:4], s[0:1], v[3:4]
	;; [unrolled: 1-line block ×10, first 2 shown]
	v_mad_co_u64_u32 v[45:46], null, s7, v80, v[0:1]
	v_mul_f32_e32 v15, v94, v7
	v_cvt_f32_f64_e32 v0, v[1:2]
	v_cvt_f32_f64_e32 v1, v[25:26]
	v_mul_f64_e32 v[25:26], s[0:1], v[37:38]
	v_cvt_f32_f64_e32 v2, v[3:4]
	v_fma_f32 v43, v93, v8, -v15
	v_cvt_f64_f32_e32 v[7:8], v16
	v_cvt_f64_f32_e32 v[15:16], v42
	;; [unrolled: 1-line block ×3, first 2 shown]
	v_mov_b32_e32 v22, v24
	v_cvt_f64_f32_e32 v[39:40], v39
	v_cvt_f64_f32_e32 v[43:44], v43
	v_cvt_f32_f64_e32 v3, v[5:6]
	v_cvt_f32_f64_e32 v13, v[13:14]
	v_mad_co_u64_u32 v[46:47], null, s5, v117, v[22:23]
	v_mov_b32_e32 v22, v45
	v_cvt_f32_f64_e32 v14, v[17:18]
	v_cvt_f32_f64_e32 v11, v[11:12]
	s_delay_alu instid0(VALU_DEP_3) | instskip(SKIP_3) | instid1(VALU_DEP_4)
	v_lshlrev_b64_e32 v[21:22], 3, v[21:22]
	v_mov_b32_e32 v24, v46
	v_cvt_f32_f64_e32 v12, v[29:30]
	v_cvt_f32_f64_e32 v9, v[9:10]
	v_add_co_u32 v45, vcc_lo, s2, v21
	s_wait_alu 0xfffd
	v_add_co_ci_u32_e32 v46, vcc_lo, s3, v22, vcc_lo
	v_mul_f64_e32 v[21:22], s[0:1], v[31:32]
	v_mul_f64_e32 v[31:32], s[0:1], v[33:34]
	;; [unrolled: 1-line block ×3, first 2 shown]
	v_lshlrev_b64_e32 v[23:24], 3, v[23:24]
	v_cvt_f32_f64_e32 v10, v[27:28]
	s_mul_i32 s2, s5, 0xffffe278
	s_wait_alu 0xfffe
	s_sub_co_i32 s2, s2, s4
	s_delay_alu instid0(VALU_DEP_2)
	v_add_co_u32 v23, vcc_lo, v45, v23
	s_wait_alu 0xfffd
	v_add_co_ci_u32_e32 v24, vcc_lo, v46, v24, vcc_lo
	v_mul_f64_e32 v[7:8], s[0:1], v[7:8]
	v_mul_f64_e32 v[15:16], s[0:1], v[15:16]
	;; [unrolled: 1-line block ×3, first 2 shown]
	global_store_b64 v[23:24], v[0:1], off
	v_mul_f64_e32 v[35:36], s[0:1], v[39:40]
	v_mul_f64_e32 v[39:40], s[0:1], v[43:44]
	s_mul_u64 s[0:1], s[4:5], 0x870
	s_wait_alu 0xfffe
	v_add_co_u32 v4, vcc_lo, v23, s0
	s_wait_alu 0xfffd
	v_add_co_ci_u32_e32 v5, vcc_lo, s1, v24, vcc_lo
	s_delay_alu instid0(VALU_DEP_2) | instskip(SKIP_1) | instid1(VALU_DEP_2)
	v_add_co_u32 v17, vcc_lo, v4, s0
	s_wait_alu 0xfffd
	v_add_co_ci_u32_e32 v18, vcc_lo, s1, v5, vcc_lo
	global_store_b64 v[4:5], v[2:3], off
	v_add_co_u32 v29, vcc_lo, v17, s0
	s_wait_alu 0xfffd
	v_add_co_ci_u32_e32 v30, vcc_lo, s1, v18, vcc_lo
	global_store_b64 v[17:18], v[13:14], off
	v_add_co_u32 v27, vcc_lo, v29, s0
	v_cvt_f32_f64_e32 v21, v[21:22]
	v_cvt_f32_f64_e32 v22, v[31:32]
	;; [unrolled: 1-line block ×4, first 2 shown]
	s_wait_alu 0xfffd
	v_add_co_ci_u32_e32 v28, vcc_lo, s1, v30, vcc_lo
	global_store_b64 v[29:30], v[11:12], off
	v_mad_co_u64_u32 v[25:26], null, 0xffffe278, s4, v[27:28]
	global_store_b64 v[27:28], v[9:10], off
	v_cvt_f32_f64_e32 v7, v[7:8]
	v_cvt_f32_f64_e32 v15, v[15:16]
	v_cvt_f32_f64_e32 v16, v[19:20]
	v_cvt_f32_f64_e32 v19, v[37:38]
	v_cvt_f32_f64_e32 v6, v[35:36]
	v_cvt_f32_f64_e32 v20, v[39:40]
	v_add_nc_u32_e32 v26, s2, v26
	v_add_co_u32 v0, vcc_lo, v25, s0
	s_wait_alu 0xfffd
	s_delay_alu instid0(VALU_DEP_2) | instskip(NEXT) | instid1(VALU_DEP_2)
	v_add_co_ci_u32_e32 v1, vcc_lo, s1, v26, vcc_lo
	v_add_co_u32 v2, vcc_lo, v0, s0
	s_wait_alu 0xfffd
	s_delay_alu instid0(VALU_DEP_2) | instskip(NEXT) | instid1(VALU_DEP_2)
	v_add_co_ci_u32_e32 v3, vcc_lo, s1, v1, vcc_lo
	;; [unrolled: 4-line block ×3, first 2 shown]
	v_add_co_u32 v8, vcc_lo, v4, s0
	s_wait_alu 0xfffd
	s_delay_alu instid0(VALU_DEP_2)
	v_add_co_ci_u32_e32 v9, vcc_lo, s1, v5, vcc_lo
	global_store_b64 v[25:26], v[21:22], off
	global_store_b64 v[0:1], v[31:32], off
	;; [unrolled: 1-line block ×5, first 2 shown]
.LBB0_26:
	s_nop 0
	s_sendmsg sendmsg(MSG_DEALLOC_VGPRS)
	s_endpgm
	.section	.rodata,"a",@progbits
	.p2align	6, 0x0
	.amdhsa_kernel bluestein_single_back_len1350_dim1_sp_op_CI_CI
		.amdhsa_group_segment_fixed_size 10800
		.amdhsa_private_segment_fixed_size 0
		.amdhsa_kernarg_size 104
		.amdhsa_user_sgpr_count 2
		.amdhsa_user_sgpr_dispatch_ptr 0
		.amdhsa_user_sgpr_queue_ptr 0
		.amdhsa_user_sgpr_kernarg_segment_ptr 1
		.amdhsa_user_sgpr_dispatch_id 0
		.amdhsa_user_sgpr_private_segment_size 0
		.amdhsa_wavefront_size32 1
		.amdhsa_uses_dynamic_stack 0
		.amdhsa_enable_private_segment 0
		.amdhsa_system_sgpr_workgroup_id_x 1
		.amdhsa_system_sgpr_workgroup_id_y 0
		.amdhsa_system_sgpr_workgroup_id_z 0
		.amdhsa_system_sgpr_workgroup_info 0
		.amdhsa_system_vgpr_workitem_id 0
		.amdhsa_next_free_vgpr 161
		.amdhsa_next_free_sgpr 20
		.amdhsa_reserve_vcc 1
		.amdhsa_float_round_mode_32 0
		.amdhsa_float_round_mode_16_64 0
		.amdhsa_float_denorm_mode_32 3
		.amdhsa_float_denorm_mode_16_64 3
		.amdhsa_fp16_overflow 0
		.amdhsa_workgroup_processor_mode 1
		.amdhsa_memory_ordered 1
		.amdhsa_forward_progress 0
		.amdhsa_round_robin_scheduling 0
		.amdhsa_exception_fp_ieee_invalid_op 0
		.amdhsa_exception_fp_denorm_src 0
		.amdhsa_exception_fp_ieee_div_zero 0
		.amdhsa_exception_fp_ieee_overflow 0
		.amdhsa_exception_fp_ieee_underflow 0
		.amdhsa_exception_fp_ieee_inexact 0
		.amdhsa_exception_int_div_zero 0
	.end_amdhsa_kernel
	.text
.Lfunc_end0:
	.size	bluestein_single_back_len1350_dim1_sp_op_CI_CI, .Lfunc_end0-bluestein_single_back_len1350_dim1_sp_op_CI_CI
                                        ; -- End function
	.section	.AMDGPU.csdata,"",@progbits
; Kernel info:
; codeLenInByte = 12436
; NumSgprs: 22
; NumVgprs: 161
; ScratchSize: 0
; MemoryBound: 0
; FloatMode: 240
; IeeeMode: 1
; LDSByteSize: 10800 bytes/workgroup (compile time only)
; SGPRBlocks: 2
; VGPRBlocks: 20
; NumSGPRsForWavesPerEU: 22
; NumVGPRsForWavesPerEU: 161
; Occupancy: 9
; WaveLimiterHint : 1
; COMPUTE_PGM_RSRC2:SCRATCH_EN: 0
; COMPUTE_PGM_RSRC2:USER_SGPR: 2
; COMPUTE_PGM_RSRC2:TRAP_HANDLER: 0
; COMPUTE_PGM_RSRC2:TGID_X_EN: 1
; COMPUTE_PGM_RSRC2:TGID_Y_EN: 0
; COMPUTE_PGM_RSRC2:TGID_Z_EN: 0
; COMPUTE_PGM_RSRC2:TIDIG_COMP_CNT: 0
	.text
	.p2alignl 7, 3214868480
	.fill 96, 4, 3214868480
	.type	__hip_cuid_b93639ab279d3c3d,@object ; @__hip_cuid_b93639ab279d3c3d
	.section	.bss,"aw",@nobits
	.globl	__hip_cuid_b93639ab279d3c3d
__hip_cuid_b93639ab279d3c3d:
	.byte	0                               ; 0x0
	.size	__hip_cuid_b93639ab279d3c3d, 1

	.ident	"AMD clang version 19.0.0git (https://github.com/RadeonOpenCompute/llvm-project roc-6.4.0 25133 c7fe45cf4b819c5991fe208aaa96edf142730f1d)"
	.section	".note.GNU-stack","",@progbits
	.addrsig
	.addrsig_sym __hip_cuid_b93639ab279d3c3d
	.amdgpu_metadata
---
amdhsa.kernels:
  - .args:
      - .actual_access:  read_only
        .address_space:  global
        .offset:         0
        .size:           8
        .value_kind:     global_buffer
      - .actual_access:  read_only
        .address_space:  global
        .offset:         8
        .size:           8
        .value_kind:     global_buffer
      - .actual_access:  read_only
        .address_space:  global
        .offset:         16
        .size:           8
        .value_kind:     global_buffer
      - .actual_access:  read_only
        .address_space:  global
        .offset:         24
        .size:           8
        .value_kind:     global_buffer
      - .actual_access:  read_only
        .address_space:  global
        .offset:         32
        .size:           8
        .value_kind:     global_buffer
      - .offset:         40
        .size:           8
        .value_kind:     by_value
      - .address_space:  global
        .offset:         48
        .size:           8
        .value_kind:     global_buffer
      - .address_space:  global
        .offset:         56
        .size:           8
        .value_kind:     global_buffer
      - .address_space:  global
        .offset:         64
        .size:           8
        .value_kind:     global_buffer
      - .address_space:  global
        .offset:         72
        .size:           8
        .value_kind:     global_buffer
      - .offset:         80
        .size:           4
        .value_kind:     by_value
      - .address_space:  global
        .offset:         88
        .size:           8
        .value_kind:     global_buffer
      - .address_space:  global
        .offset:         96
        .size:           8
        .value_kind:     global_buffer
    .group_segment_fixed_size: 10800
    .kernarg_segment_align: 8
    .kernarg_segment_size: 104
    .language:       OpenCL C
    .language_version:
      - 2
      - 0
    .max_flat_workgroup_size: 135
    .name:           bluestein_single_back_len1350_dim1_sp_op_CI_CI
    .private_segment_fixed_size: 0
    .sgpr_count:     22
    .sgpr_spill_count: 0
    .symbol:         bluestein_single_back_len1350_dim1_sp_op_CI_CI.kd
    .uniform_work_group_size: 1
    .uses_dynamic_stack: false
    .vgpr_count:     161
    .vgpr_spill_count: 0
    .wavefront_size: 32
    .workgroup_processor_mode: 1
amdhsa.target:   amdgcn-amd-amdhsa--gfx1201
amdhsa.version:
  - 1
  - 2
...

	.end_amdgpu_metadata
